;; amdgpu-corpus repo=ROCm/rocFFT kind=compiled arch=gfx906 opt=O3
	.text
	.amdgcn_target "amdgcn-amd-amdhsa--gfx906"
	.amdhsa_code_object_version 6
	.protected	bluestein_single_back_len1014_dim1_sp_op_CI_CI ; -- Begin function bluestein_single_back_len1014_dim1_sp_op_CI_CI
	.globl	bluestein_single_back_len1014_dim1_sp_op_CI_CI
	.p2align	8
	.type	bluestein_single_back_len1014_dim1_sp_op_CI_CI,@function
bluestein_single_back_len1014_dim1_sp_op_CI_CI: ; @bluestein_single_back_len1014_dim1_sp_op_CI_CI
; %bb.0:
	s_load_dwordx4 s[8:11], s[4:5], 0x28
	v_mul_u32_u24_e32 v1, 0x349, v0
	v_lshrrev_b32_e32 v1, 16, v1
	v_lshl_add_u32 v94, s6, 1, v1
	v_mov_b32_e32 v95, 0
	s_waitcnt lgkmcnt(0)
	v_cmp_gt_u64_e32 vcc, s[8:9], v[94:95]
	s_and_saveexec_b64 s[0:1], vcc
	s_cbranch_execz .LBB0_10
; %bb.1:
	s_load_dwordx4 s[0:3], s[4:5], 0x18
	s_load_dwordx4 s[12:15], s[4:5], 0x0
	v_mul_lo_u16_e32 v2, 0x4e, v1
	v_sub_u16_e32 v118, v0, v2
	v_lshlrev_b32_e32 v32, 3, v118
	s_waitcnt lgkmcnt(0)
	s_load_dwordx4 s[16:19], s[0:1], 0x0
	s_movk_i32 s8, 0x1000
	s_waitcnt lgkmcnt(0)
	v_mad_u64_u32 v[2:3], s[0:1], s18, v94, 0
	v_mad_u64_u32 v[4:5], s[0:1], s16, v118, 0
	v_mov_b32_e32 v0, v3
	s_mul_i32 s6, s17, 0x270
	v_mov_b32_e32 v3, v5
	v_mad_u64_u32 v[5:6], s[0:1], s19, v94, v[0:1]
	v_mad_u64_u32 v[6:7], s[0:1], s17, v118, v[3:4]
	v_mov_b32_e32 v3, v5
	v_lshlrev_b64 v[2:3], 3, v[2:3]
	v_mov_b32_e32 v0, s11
	v_mov_b32_e32 v5, v6
	v_add_co_u32_e32 v6, vcc, s10, v2
	v_addc_co_u32_e32 v0, vcc, v0, v3, vcc
	v_lshlrev_b64 v[2:3], 3, v[4:5]
	v_add_co_u32_e64 v60, s[0:1], s12, v32
	v_add_co_u32_e32 v2, vcc, v6, v2
	v_addc_co_u32_e32 v3, vcc, v0, v3, vcc
	v_mov_b32_e32 v0, s13
	s_mul_hi_u32 s7, s16, 0x270
	v_addc_co_u32_e64 v0, vcc, 0, v0, s[0:1]
	s_add_i32 s6, s7, s6
	s_mul_i32 s7, s16, 0x270
	global_load_dwordx2 v[4:5], v[2:3], off
	v_mov_b32_e32 v6, s6
	v_add_co_u32_e32 v2, vcc, s7, v2
	v_addc_co_u32_e32 v3, vcc, v3, v6, vcc
	v_mov_b32_e32 v7, s6
	v_add_co_u32_e32 v6, vcc, s7, v2
	v_addc_co_u32_e32 v7, vcc, v3, v7, vcc
	;; [unrolled: 3-line block ×4, first 2 shown]
	global_load_dwordx2 v[109:110], v32, s[12:13]
	global_load_dwordx2 v[107:108], v32, s[12:13] offset:624
	global_load_dwordx2 v[103:104], v32, s[12:13] offset:1248
	;; [unrolled: 1-line block ×3, first 2 shown]
	global_load_dwordx2 v[12:13], v[2:3], off
	global_load_dwordx2 v[14:15], v[6:7], off
	;; [unrolled: 1-line block ×4, first 2 shown]
	v_mov_b32_e32 v3, s6
	v_add_co_u32_e32 v2, vcc, s7, v10
	v_addc_co_u32_e32 v3, vcc, v11, v3, vcc
	global_load_dwordx2 v[6:7], v[2:3], off
	v_mov_b32_e32 v8, s6
	v_add_co_u32_e32 v2, vcc, s7, v2
	v_addc_co_u32_e32 v3, vcc, v3, v8, vcc
	global_load_dwordx2 v[8:9], v[2:3], off
	global_load_dwordx2 v[105:106], v32, s[12:13] offset:2496
	global_load_dwordx2 v[101:102], v32, s[12:13] offset:3120
	;; [unrolled: 1-line block ×3, first 2 shown]
	v_mov_b32_e32 v10, s6
	v_add_co_u32_e32 v2, vcc, s7, v2
	v_addc_co_u32_e32 v3, vcc, v3, v10, vcc
	v_add_co_u32_e32 v20, vcc, s8, v60
	v_addc_co_u32_e32 v21, vcc, 0, v0, vcc
	global_load_dwordx2 v[10:11], v[2:3], off
	v_mov_b32_e32 v0, s6
	v_add_co_u32_e32 v2, vcc, s7, v2
	v_addc_co_u32_e32 v3, vcc, v3, v0, vcc
	global_load_dwordx2 v[22:23], v[2:3], off
	global_load_dwordx2 v[97:98], v[20:21], off offset:272
	global_load_dwordx2 v[90:91], v[20:21], off offset:896
	v_add_co_u32_e32 v2, vcc, s7, v2
	v_addc_co_u32_e32 v3, vcc, v3, v0, vcc
	global_load_dwordx2 v[24:25], v[2:3], off
	v_add_co_u32_e32 v2, vcc, s7, v2
	v_addc_co_u32_e32 v3, vcc, v3, v0, vcc
	global_load_dwordx2 v[92:93], v[20:21], off offset:1520
	global_load_dwordx2 v[26:27], v[2:3], off
	global_load_dwordx2 v[88:89], v[20:21], off offset:2144
	v_add_co_u32_e32 v2, vcc, s7, v2
	v_addc_co_u32_e32 v3, vcc, v3, v0, vcc
	global_load_dwordx2 v[28:29], v[2:3], off
	global_load_dwordx2 v[86:87], v[20:21], off offset:2768
	v_add_co_u32_e32 v2, vcc, s7, v2
	v_addc_co_u32_e32 v3, vcc, v3, v0, vcc
	global_load_dwordx2 v[30:31], v[2:3], off
	global_load_dwordx2 v[84:85], v[20:21], off offset:3392
	v_and_b32_e32 v0, 1, v1
	v_mov_b32_e32 v1, 0x1fb0
	v_cmp_eq_u32_e32 vcc, 1, v0
	v_cndmask_b32_e32 v119, 0, v1, vcc
	v_add_u32_e32 v117, v119, v32
	s_load_dwordx4 s[8:11], s[2:3], 0x0
	s_mov_b32 s7, 0x3f62ad3f
	s_mov_b32 s6, 0x3f116cb1
	;; [unrolled: 1-line block ×6, first 2 shown]
	s_load_dwordx2 s[2:3], s[4:5], 0x38
	v_cmp_gt_u16_e32 vcc, 13, v118
	s_waitcnt vmcnt(24)
	v_mul_f32_e32 v0, v5, v110
	v_mul_f32_e32 v1, v4, v110
	s_waitcnt vmcnt(20)
	v_mul_f32_e32 v2, v13, v108
	v_mul_f32_e32 v3, v12, v108
	v_fmac_f32_e32 v0, v4, v109
	v_fma_f32 v1, v5, v109, -v1
	v_fmac_f32_e32 v2, v12, v107
	v_fma_f32 v3, v13, v107, -v3
	ds_write2_b64 v117, v[0:1], v[2:3] offset1:78
	s_waitcnt vmcnt(19)
	v_mul_f32_e32 v0, v15, v104
	v_mul_f32_e32 v1, v14, v104
	s_waitcnt vmcnt(18)
	v_mul_f32_e32 v2, v17, v100
	v_mul_f32_e32 v3, v16, v100
	v_fmac_f32_e32 v0, v14, v103
	v_fma_f32 v1, v15, v103, -v1
	v_fmac_f32_e32 v2, v16, v99
	v_fma_f32 v3, v17, v99, -v3
	ds_write2_b64 v117, v[0:1], v[2:3] offset0:156 offset1:234
	s_waitcnt vmcnt(14)
	v_mul_f32_e32 v0, v19, v106
	v_mul_f32_e32 v1, v18, v106
	s_waitcnt vmcnt(13)
	v_mul_f32_e32 v2, v7, v102
	v_mul_f32_e32 v3, v6, v102
	v_fmac_f32_e32 v0, v18, v105
	v_fma_f32 v1, v19, v105, -v1
	v_fmac_f32_e32 v2, v6, v101
	v_fma_f32 v3, v7, v101, -v3
	v_add_u32_e32 v4, 0x800, v117
	ds_write2_b64 v4, v[0:1], v[2:3] offset0:56 offset1:134
	s_waitcnt vmcnt(12)
	v_mul_f32_e32 v0, v9, v96
	v_mul_f32_e32 v1, v8, v96
	v_fmac_f32_e32 v0, v8, v95
	s_waitcnt vmcnt(9)
	v_mul_f32_e32 v2, v11, v98
	v_mul_f32_e32 v3, v10, v98
	v_fma_f32 v1, v9, v95, -v1
	v_fmac_f32_e32 v2, v10, v97
	v_fma_f32 v3, v11, v97, -v3
	v_add_u32_e32 v5, 0xc00, v117
	ds_write2_b64 v5, v[0:1], v[2:3] offset0:84 offset1:162
	s_waitcnt vmcnt(8)
	v_mul_f32_e32 v0, v23, v91
	v_mul_f32_e32 v1, v22, v91
	s_waitcnt vmcnt(6)
	v_mul_f32_e32 v2, v25, v93
	v_mul_f32_e32 v3, v24, v93
	v_fmac_f32_e32 v0, v22, v90
	v_fma_f32 v1, v23, v90, -v1
	v_fmac_f32_e32 v2, v24, v92
	v_fma_f32 v3, v25, v92, -v3
	v_add_u32_e32 v6, 0x1000, v117
	ds_write2_b64 v6, v[0:1], v[2:3] offset0:112 offset1:190
	s_waitcnt vmcnt(4)
	v_mul_f32_e32 v0, v27, v89
	v_mul_f32_e32 v1, v26, v89
	s_waitcnt vmcnt(2)
	v_mul_f32_e32 v2, v29, v87
	v_mul_f32_e32 v3, v28, v87
	v_fmac_f32_e32 v0, v26, v88
	v_fma_f32 v1, v27, v88, -v1
	v_fmac_f32_e32 v2, v28, v86
	v_fma_f32 v3, v29, v86, -v3
	v_add_u32_e32 v8, 0x1800, v117
	ds_write2_b64 v8, v[0:1], v[2:3] offset0:12 offset1:90
	s_waitcnt vmcnt(0)
	v_mul_f32_e32 v0, v31, v85
	v_mul_f32_e32 v1, v30, v85
	v_fmac_f32_e32 v0, v30, v84
	v_fma_f32 v1, v31, v84, -v1
	ds_write_b64 v117, v[0:1] offset:7488
	s_waitcnt lgkmcnt(0)
	s_barrier
	ds_read2_b64 v[9:12], v117 offset1:78
	ds_read2_b64 v[13:16], v117 offset0:156 offset1:234
	ds_read2_b64 v[17:20], v4 offset0:56 offset1:134
	;; [unrolled: 1-line block ×5, first 2 shown]
	ds_read_b64 v[29:30], v117 offset:7488
	s_waitcnt lgkmcnt(6)
	v_add_f32_e32 v7, v9, v11
	v_add_f32_e32 v31, v10, v12
	s_waitcnt lgkmcnt(5)
	v_add_f32_e32 v7, v7, v13
	v_add_f32_e32 v31, v31, v14
	v_add_f32_e32 v7, v7, v15
	v_add_f32_e32 v31, v31, v16
	s_waitcnt lgkmcnt(4)
	v_add_f32_e32 v7, v7, v17
	v_add_f32_e32 v31, v31, v18
	;; [unrolled: 5-line block ×4, first 2 shown]
	v_add_f32_e32 v7, v7, v23
	v_add_f32_e32 v31, v31, v24
	s_waitcnt lgkmcnt(1)
	v_add_f32_e32 v7, v7, v25
	s_waitcnt lgkmcnt(0)
	v_add_f32_e32 v32, v29, v11
	v_add_f32_e32 v33, v30, v12
	v_sub_f32_e32 v11, v11, v29
	v_sub_f32_e32 v12, v12, v30
	v_add_f32_e32 v31, v31, v26
	v_add_f32_e32 v7, v7, v27
	v_mul_f32_e32 v34, 0xbeedf032, v12
	v_mul_f32_e32 v36, 0xbeedf032, v11
	v_mul_f32_e32 v37, 0xbf52af12, v12
	v_add_f32_e32 v39, v27, v13
	v_sub_f32_e32 v13, v13, v27
	v_add_f32_e32 v27, v25, v15
	v_sub_f32_e32 v15, v15, v25
	v_mul_f32_e32 v25, 0xbf7e222b, v12
	v_mul_f32_e32 v41, 0xbf6f5d39, v12
	;; [unrolled: 1-line block ×9, first 2 shown]
	v_add_f32_e32 v31, v31, v28
	v_fma_f32 v35, v32, s7, -v34
	v_fmac_f32_e32 v34, 0x3f62ad3f, v32
	v_fma_f32 v38, v32, s6, -v37
	v_fmac_f32_e32 v37, 0x3f116cb1, v32
	v_add_f32_e32 v40, v28, v14
	v_sub_f32_e32 v14, v14, v28
	v_add_f32_e32 v28, v26, v16
	v_sub_f32_e32 v16, v16, v26
	v_fma_f32 v26, v32, s12, -v25
	v_fmac_f32_e32 v25, 0x3df6dbef, v32
	v_fma_f32 v42, v32, s16, -v41
	v_fmac_f32_e32 v41, 0xbeb58ec6, v32
	;; [unrolled: 2-line block ×4, first 2 shown]
	v_mov_b32_e32 v32, v36
	v_mov_b32_e32 v47, v46
	;; [unrolled: 1-line block ×6, first 2 shown]
	v_fmac_f32_e32 v32, 0x3f62ad3f, v33
	v_fma_f32 v36, v33, s7, -v36
	v_fmac_f32_e32 v47, 0x3f116cb1, v33
	v_fma_f32 v46, v33, s6, -v46
	;; [unrolled: 2-line block ×6, first 2 shown]
	v_add_f32_e32 v33, v9, v35
	v_add_f32_e32 v32, v10, v32
	;; [unrolled: 1-line block ×15, first 2 shown]
	v_mul_f32_e32 v30, 0xbf52af12, v13
	v_mov_b32_e32 v31, v30
	v_add_f32_e32 v34, v9, v34
	v_add_f32_e32 v37, v9, v37
	;; [unrolled: 1-line block ×11, first 2 shown]
	v_mul_f32_e32 v7, 0xbf52af12, v14
	v_fmac_f32_e32 v31, 0x3f116cb1, v40
	v_fma_f32 v29, v39, s6, -v7
	v_add_f32_e32 v31, v31, v32
	v_mul_f32_e32 v32, 0xbf6f5d39, v14
	v_add_f32_e32 v29, v29, v33
	v_fmac_f32_e32 v7, 0x3f116cb1, v39
	v_fma_f32 v33, v39, s16, -v32
	v_add_f32_e32 v7, v7, v34
	v_fma_f32 v30, v40, s6, -v30
	v_add_f32_e32 v33, v33, v36
	v_mul_f32_e32 v34, 0xbf6f5d39, v13
	v_fmac_f32_e32 v32, 0xbeb58ec6, v39
	v_mul_f32_e32 v36, 0xbe750f2a, v14
	v_add_f32_e32 v30, v30, v35
	v_mov_b32_e32 v35, v34
	v_add_f32_e32 v32, v32, v37
	v_fma_f32 v37, v39, s18, -v36
	v_fmac_f32_e32 v35, 0xbeb58ec6, v40
	v_add_f32_e32 v26, v37, v26
	v_mul_f32_e32 v37, 0xbe750f2a, v13
	v_fmac_f32_e32 v36, 0xbf788fa5, v39
	v_add_f32_e32 v35, v35, v38
	v_fma_f32 v34, v40, s16, -v34
	v_mov_b32_e32 v38, v37
	v_add_f32_e32 v25, v36, v25
	v_fma_f32 v36, v40, s18, -v37
	v_mul_f32_e32 v37, 0x3f29c268, v14
	v_add_f32_e32 v34, v34, v46
	v_fma_f32 v46, v39, s17, -v37
	v_fmac_f32_e32 v38, 0xbf788fa5, v40
	v_add_f32_e32 v42, v46, v42
	v_mul_f32_e32 v46, 0x3f29c268, v13
	v_fmac_f32_e32 v37, 0xbf3f9e67, v39
	v_add_f32_e32 v38, v38, v47
	v_mov_b32_e32 v47, v46
	v_add_f32_e32 v37, v37, v41
	v_fma_f32 v41, v40, s17, -v46
	v_mul_f32_e32 v46, 0x3f7e222b, v14
	v_add_f32_e32 v36, v36, v48
	v_fma_f32 v48, v39, s12, -v46
	v_fmac_f32_e32 v47, 0xbf3f9e67, v40
	v_add_f32_e32 v44, v48, v44
	v_mul_f32_e32 v48, 0x3f7e222b, v13
	v_fmac_f32_e32 v46, 0x3df6dbef, v39
	v_mul_f32_e32 v14, 0x3eedf032, v14
	v_add_f32_e32 v47, v47, v49
	v_mov_b32_e32 v49, v48
	v_add_f32_e32 v43, v46, v43
	v_fma_f32 v46, v40, s12, -v48
	v_fma_f32 v48, v39, s7, -v14
	v_mul_f32_e32 v13, 0x3eedf032, v13
	v_add_f32_e32 v45, v48, v45
	v_mov_b32_e32 v48, v13
	v_fma_f32 v13, v40, s7, -v13
	v_fmac_f32_e32 v14, 0x3f62ad3f, v39
	v_add_f32_e32 v11, v13, v11
	v_mul_f32_e32 v13, 0xbf7e222b, v16
	v_add_f32_e32 v12, v14, v12
	v_fma_f32 v14, v27, s12, -v13
	v_add_f32_e32 v14, v14, v29
	v_mul_f32_e32 v29, 0xbf7e222b, v15
	v_fmac_f32_e32 v13, 0x3df6dbef, v27
	v_mov_b32_e32 v39, v29
	v_add_f32_e32 v7, v13, v7
	v_fma_f32 v13, v28, s12, -v29
	v_mul_f32_e32 v29, 0xbe750f2a, v16
	v_add_f32_e32 v13, v13, v30
	v_fma_f32 v30, v27, s18, -v29
	v_fmac_f32_e32 v39, 0x3df6dbef, v28
	v_add_f32_e32 v30, v30, v33
	v_mul_f32_e32 v33, 0xbe750f2a, v15
	v_fmac_f32_e32 v29, 0xbf788fa5, v27
	v_add_f32_e32 v31, v39, v31
	v_mov_b32_e32 v39, v33
	v_add_f32_e32 v29, v29, v32
	v_fma_f32 v32, v28, s18, -v33
	v_mul_f32_e32 v33, 0x3f6f5d39, v16
	v_add_f32_e32 v32, v32, v34
	v_fma_f32 v34, v27, s16, -v33
	v_fmac_f32_e32 v39, 0xbf788fa5, v28
	v_add_f32_e32 v26, v34, v26
	v_mul_f32_e32 v34, 0x3f6f5d39, v15
	v_add_f32_e32 v35, v39, v35
	v_mov_b32_e32 v39, v34
	v_fmac_f32_e32 v33, 0xbeb58ec6, v27
	v_fmac_f32_e32 v39, 0xbeb58ec6, v28
	v_add_f32_e32 v25, v33, v25
	v_fma_f32 v33, v28, s16, -v34
	v_mul_f32_e32 v34, 0x3eedf032, v16
	v_add_f32_e32 v38, v39, v38
	v_add_f32_e32 v33, v33, v36
	v_fma_f32 v36, v27, s7, -v34
	v_mul_f32_e32 v39, 0x3eedf032, v15
	v_fmac_f32_e32 v34, 0x3f62ad3f, v27
	v_add_f32_e32 v41, v41, v50
	v_fmac_f32_e32 v49, 0x3df6dbef, v40
	v_fmac_f32_e32 v48, 0x3f62ad3f, v40
	v_mov_b32_e32 v40, v39
	v_add_f32_e32 v34, v34, v37
	v_fma_f32 v37, v28, s7, -v39
	v_mul_f32_e32 v39, 0xbf52af12, v16
	v_add_f32_e32 v37, v37, v41
	v_fma_f32 v41, v27, s6, -v39
	v_fmac_f32_e32 v39, 0x3f116cb1, v27
	v_mul_f32_e32 v16, 0xbf29c268, v16
	v_add_f32_e32 v36, v36, v42
	v_mul_f32_e32 v42, 0xbf52af12, v15
	v_add_f32_e32 v39, v39, v43
	v_fma_f32 v43, v27, s17, -v16
	v_mul_f32_e32 v15, 0xbf29c268, v15
	v_fmac_f32_e32 v16, 0xbf3f9e67, v27
	v_add_f32_e32 v43, v43, v45
	v_mov_b32_e32 v45, v15
	v_add_f32_e32 v12, v16, v12
	v_fma_f32 v15, v28, s17, -v15
	v_add_f32_e32 v16, v24, v18
	v_sub_f32_e32 v18, v18, v24
	v_add_f32_e32 v11, v15, v11
	v_add_f32_e32 v15, v23, v17
	v_sub_f32_e32 v17, v17, v23
	v_mul_f32_e32 v23, 0xbf6f5d39, v18
	v_fma_f32 v24, v15, s16, -v23
	v_add_f32_e32 v14, v24, v14
	v_mul_f32_e32 v24, 0xbf6f5d39, v17
	v_fmac_f32_e32 v23, 0xbeb58ec6, v15
	v_add_f32_e32 v7, v23, v7
	v_fma_f32 v23, v16, s16, -v24
	v_add_f32_e32 v13, v23, v13
	v_mul_f32_e32 v23, 0x3f29c268, v18
	v_mov_b32_e32 v27, v24
	v_fma_f32 v24, v15, s17, -v23
	v_fmac_f32_e32 v23, 0xbf3f9e67, v15
	v_add_f32_e32 v41, v41, v44
	v_mov_b32_e32 v44, v42
	v_fmac_f32_e32 v27, 0xbeb58ec6, v16
	v_add_f32_e32 v23, v23, v29
	v_mul_f32_e32 v29, 0x3eedf032, v18
	v_fmac_f32_e32 v40, 0x3f62ad3f, v28
	v_fmac_f32_e32 v44, 0x3f116cb1, v28
	v_fma_f32 v42, v28, s6, -v42
	v_fmac_f32_e32 v45, 0xbf3f9e67, v28
	v_add_f32_e32 v27, v27, v31
	v_mul_f32_e32 v28, 0x3f29c268, v17
	v_fma_f32 v31, v15, s7, -v29
	v_add_f32_e32 v24, v24, v30
	v_mov_b32_e32 v30, v28
	v_fma_f32 v28, v16, s17, -v28
	v_add_f32_e32 v26, v31, v26
	v_mul_f32_e32 v31, 0x3eedf032, v17
	v_fmac_f32_e32 v29, 0x3f62ad3f, v15
	v_fmac_f32_e32 v30, 0xbf3f9e67, v16
	v_add_f32_e32 v28, v28, v32
	v_mov_b32_e32 v32, v31
	v_add_f32_e32 v25, v29, v25
	v_fma_f32 v29, v16, s7, -v31
	v_mul_f32_e32 v31, 0xbf7e222b, v18
	v_add_f32_e32 v30, v30, v35
	v_add_f32_e32 v29, v29, v33
	v_fma_f32 v33, v15, s12, -v31
	v_mul_f32_e32 v35, 0xbf7e222b, v17
	v_fmac_f32_e32 v31, 0x3df6dbef, v15
	v_add_f32_e32 v33, v33, v36
	v_mov_b32_e32 v36, v35
	v_add_f32_e32 v31, v31, v34
	v_fma_f32 v34, v16, s12, -v35
	v_mul_f32_e32 v35, 0x3e750f2a, v18
	v_fmac_f32_e32 v32, 0x3f62ad3f, v16
	v_add_f32_e32 v34, v34, v37
	v_fma_f32 v37, v15, s18, -v35
	v_fmac_f32_e32 v35, 0xbf788fa5, v15
	v_mul_f32_e32 v18, 0x3f52af12, v18
	v_add_f32_e32 v32, v32, v38
	v_mul_f32_e32 v38, 0x3e750f2a, v17
	v_add_f32_e32 v35, v35, v39
	v_fma_f32 v39, v15, s6, -v18
	v_mul_f32_e32 v17, 0x3f52af12, v17
	v_fmac_f32_e32 v18, 0x3f116cb1, v15
	v_add_f32_e32 v40, v40, v47
	v_fmac_f32_e32 v36, 0x3df6dbef, v16
	v_add_f32_e32 v12, v18, v12
	v_fma_f32 v15, v16, s6, -v17
	v_sub_f32_e32 v18, v20, v22
	v_add_f32_e32 v36, v36, v40
	v_add_f32_e32 v37, v37, v41
	v_mov_b32_e32 v40, v38
	v_mov_b32_e32 v41, v17
	v_add_f32_e32 v11, v15, v11
	v_add_f32_e32 v15, v21, v19
	v_sub_f32_e32 v17, v19, v21
	v_mul_f32_e32 v19, 0xbf29c268, v18
	v_fmac_f32_e32 v40, 0xbf788fa5, v16
	v_fma_f32 v38, v16, s18, -v38
	v_fmac_f32_e32 v41, 0x3f116cb1, v16
	v_add_f32_e32 v16, v22, v20
	v_fma_f32 v20, v15, s17, -v19
	v_add_f32_e32 v14, v20, v14
	v_mul_f32_e32 v20, 0xbf29c268, v17
	v_fmac_f32_e32 v19, 0xbf3f9e67, v15
	v_add_f32_e32 v7, v19, v7
	v_fma_f32 v19, v16, s17, -v20
	v_add_f32_e32 v13, v19, v13
	v_mul_f32_e32 v19, 0x3f7e222b, v18
	v_mov_b32_e32 v21, v20
	v_fma_f32 v20, v15, s12, -v19
	v_mul_f32_e32 v22, 0x3f7e222b, v17
	v_add_f32_e32 v20, v20, v24
	v_mov_b32_e32 v24, v22
	v_fmac_f32_e32 v19, 0x3df6dbef, v15
	v_fmac_f32_e32 v21, 0xbf3f9e67, v16
	;; [unrolled: 1-line block ×3, first 2 shown]
	v_add_f32_e32 v19, v19, v23
	v_mul_f32_e32 v23, 0xbf52af12, v18
	v_add_f32_e32 v21, v21, v27
	v_add_f32_e32 v27, v24, v30
	v_fma_f32 v24, v15, s6, -v23
	v_fma_f32 v22, v16, s12, -v22
	v_add_f32_e32 v26, v24, v26
	v_mul_f32_e32 v24, 0xbf52af12, v17
	v_add_f32_e32 v22, v22, v28
	v_mov_b32_e32 v28, v24
	v_fma_f32 v24, v16, s6, -v24
	v_fmac_f32_e32 v23, 0x3f116cb1, v15
	v_add_f32_e32 v29, v24, v29
	v_mul_f32_e32 v24, 0x3e750f2a, v18
	v_add_f32_e32 v23, v23, v25
	v_fma_f32 v25, v15, s18, -v24
	v_add_f32_e32 v30, v25, v33
	v_mul_f32_e32 v25, 0x3e750f2a, v17
	v_fmac_f32_e32 v24, 0xbf788fa5, v15
	v_add_f32_e32 v31, v24, v31
	v_fma_f32 v24, v16, s18, -v25
	v_fmac_f32_e32 v28, 0x3f116cb1, v16
	v_add_f32_e32 v33, v24, v34
	v_mul_f32_e32 v24, 0x3eedf032, v18
	v_add_f32_e32 v46, v46, v52
	v_add_f32_e32 v28, v28, v32
	v_mov_b32_e32 v32, v25
	v_fma_f32 v25, v15, s7, -v24
	v_add_f32_e32 v48, v48, v53
	v_add_f32_e32 v42, v42, v46
	;; [unrolled: 1-line block ×3, first 2 shown]
	v_mul_f32_e32 v25, 0x3eedf032, v17
	v_fmac_f32_e32 v24, 0x3f62ad3f, v15
	v_add_f32_e32 v49, v49, v51
	v_add_f32_e32 v45, v45, v48
	;; [unrolled: 1-line block ×4, first 2 shown]
	v_fma_f32 v24, v16, s7, -v25
	v_mul_f32_e32 v18, 0xbf6f5d39, v18
	v_add_f32_e32 v44, v44, v49
	v_add_f32_e32 v39, v39, v43
	;; [unrolled: 1-line block ×3, first 2 shown]
	v_fmac_f32_e32 v32, 0xbf788fa5, v16
	v_add_f32_e32 v37, v24, v38
	v_fma_f32 v24, v15, s16, -v18
	v_mul_f32_e32 v17, 0xbf6f5d39, v17
	v_sub_f32_e32 v45, v1, v3
	v_add_f32_e32 v40, v40, v44
	v_add_f32_e32 v32, v32, v36
	v_mov_b32_e32 v36, v25
	v_add_f32_e32 v38, v24, v39
	v_mov_b32_e32 v24, v17
	v_add_f32_e32 v42, v2, v0
	v_sub_f32_e32 v44, v0, v2
	v_mul_f32_e32 v2, 0xbe750f2a, v45
	v_fmac_f32_e32 v36, 0x3f62ad3f, v16
	v_fmac_f32_e32 v24, 0xbeb58ec6, v16
	;; [unrolled: 1-line block ×3, first 2 shown]
	v_add_f32_e32 v43, v3, v1
	v_fma_f32 v0, v42, s18, -v2
	v_mul_f32_e32 v3, 0xbe750f2a, v44
	v_fmac_f32_e32 v2, 0xbf788fa5, v42
	v_add_f32_e32 v36, v36, v40
	v_add_f32_e32 v39, v24, v41
	;; [unrolled: 1-line block ×3, first 2 shown]
	v_fma_f32 v12, v16, s16, -v17
	v_add_f32_e32 v24, v2, v7
	v_fma_f32 v2, v43, s18, -v3
	v_mul_f32_e32 v7, 0x3eedf032, v45
	v_add_f32_e32 v41, v12, v11
	v_add_f32_e32 v25, v2, v13
	v_fma_f32 v2, v42, s7, -v7
	v_mul_f32_e32 v12, 0x3eedf032, v44
	v_fmac_f32_e32 v7, 0x3f62ad3f, v42
	v_add_f32_e32 v11, v7, v19
	v_fma_f32 v7, v43, s7, -v12
	v_mov_b32_e32 v1, v3
	v_mov_b32_e32 v3, v12
	v_add_f32_e32 v12, v7, v22
	v_mul_f32_e32 v7, 0xbf29c268, v45
	v_fma_f32 v13, v42, s17, -v7
	v_mul_f32_e32 v16, 0xbf29c268, v44
	v_fmac_f32_e32 v7, 0xbf3f9e67, v42
	v_add_f32_e32 v15, v7, v23
	v_fma_f32 v7, v43, s17, -v16
	v_add_f32_e32 v0, v0, v14
	v_mov_b32_e32 v14, v16
	v_add_f32_e32 v16, v7, v29
	v_mul_f32_e32 v7, 0x3f52af12, v45
	v_add_f32_e32 v2, v2, v20
	v_fma_f32 v17, v42, s6, -v7
	v_mul_f32_e32 v20, 0x3f52af12, v44
	v_fmac_f32_e32 v7, 0x3f116cb1, v42
	v_add_f32_e32 v19, v7, v31
	v_fma_f32 v7, v43, s6, -v20
	v_fmac_f32_e32 v1, 0xbf788fa5, v43
	v_mov_b32_e32 v18, v20
	v_add_f32_e32 v20, v7, v33
	v_mul_f32_e32 v7, 0xbf6f5d39, v45
	v_add_f32_e32 v1, v1, v21
	v_fma_f32 v21, v42, s16, -v7
	v_mul_f32_e32 v23, 0xbf6f5d39, v44
	v_fmac_f32_e32 v7, 0xbeb58ec6, v42
	v_fmac_f32_e32 v3, 0x3f62ad3f, v43
	v_add_f32_e32 v13, v13, v26
	v_add_f32_e32 v26, v7, v35
	v_fma_f32 v7, v43, s16, -v23
	v_add_f32_e32 v3, v3, v27
	v_add_f32_e32 v27, v7, v37
	v_mul_f32_e32 v7, 0x3f7e222b, v45
	v_fmac_f32_e32 v14, 0xbf3f9e67, v43
	v_mov_b32_e32 v22, v23
	v_fma_f32 v23, v42, s12, -v7
	v_add_f32_e32 v14, v14, v28
	v_add_f32_e32 v28, v23, v38
	v_mul_f32_e32 v23, 0x3f7e222b, v44
	v_fmac_f32_e32 v7, 0x3df6dbef, v42
	v_add_f32_e32 v17, v17, v30
	v_mov_b32_e32 v29, v23
	v_add_f32_e32 v30, v7, v40
	v_fma_f32 v7, v43, s12, -v23
	v_fmac_f32_e32 v29, 0x3df6dbef, v43
	v_add_f32_e32 v31, v7, v41
	v_mul_lo_u16_e32 v7, 13, v118
	v_fmac_f32_e32 v18, 0x3f116cb1, v43
	v_fmac_f32_e32 v22, 0xbeb58ec6, v43
	v_add_f32_e32 v29, v29, v39
	v_lshl_add_u32 v61, v7, 3, v119
	v_add_f32_e32 v18, v18, v32
	v_add_f32_e32 v21, v21, v34
	;; [unrolled: 1-line block ×3, first 2 shown]
	s_barrier
	ds_write2_b64 v61, v[9:10], v[0:1] offset1:1
	ds_write2_b64 v61, v[2:3], v[13:14] offset0:2 offset1:3
	ds_write2_b64 v61, v[17:18], v[21:22] offset0:4 offset1:5
	;; [unrolled: 1-line block ×5, first 2 shown]
	ds_write_b64 v61, v[24:25] offset:96
	s_waitcnt lgkmcnt(0)
	s_barrier
	ds_read2_b64 v[28:31], v117 offset1:78
	ds_read2_b64 v[48:51], v117 offset0:169 offset1:247
	ds_read2_b64 v[44:47], v4 offset0:82 offset1:160
	;; [unrolled: 1-line block ×5, first 2 shown]
                                        ; implicit-def: $vgpr36
                                        ; implicit-def: $vgpr32
	s_and_saveexec_b64 s[4:5], vcc
	s_cbranch_execz .LBB0_3
; %bb.2:
	v_add_u32_e32 v9, 0x400, v117
	ds_read2_b64 v[24:27], v9 offset0:28 offset1:197
	v_add_u32_e32 v9, 0xe00, v117
	ds_read2_b64 v[36:39], v9 offset0:46 offset1:215
	ds_read2_b64 v[32:35], v8 offset0:64 offset1:233
.LBB0_3:
	s_or_b64 exec, exec, s[4:5]
	s_movk_i32 s6, 0x4f
	v_mul_lo_u16_sdwa v8, v118, s6 dst_sel:DWORD dst_unused:UNUSED_PAD src0_sel:BYTE_0 src1_sel:DWORD
	v_lshrrev_b16_e32 v68, 10, v8
	v_mul_lo_u16_e32 v8, 13, v68
	v_sub_u16_e32 v8, v118, v8
	v_and_b32_e32 v69, 0xff, v8
	v_mad_u64_u32 v[16:17], s[4:5], v69, 40, s[14:15]
	global_load_dwordx2 v[113:114], v[16:17], off offset:32
	global_load_dwordx4 v[8:11], v[16:17], off offset:16
	global_load_dwordx4 v[12:15], v[16:17], off
	s_waitcnt vmcnt(2) lgkmcnt(0)
	v_mul_f32_e32 v57, v0, v114
	s_waitcnt vmcnt(1)
	v_mul_f32_e32 v55, v4, v11
	s_waitcnt vmcnt(0)
	v_mul_f32_e32 v16, v49, v13
	v_fma_f32 v52, v48, v12, -v16
	v_mul_f32_e32 v48, v48, v13
	v_mul_f32_e32 v16, v45, v15
	v_fmac_f32_e32 v48, v49, v12
	v_fma_f32 v49, v44, v14, -v16
	v_mul_f32_e32 v44, v44, v15
	v_mul_f32_e32 v16, v41, v9
	v_fmac_f32_e32 v44, v45, v14
	v_fma_f32 v45, v40, v8, -v16
	v_mul_f32_e32 v16, v5, v11
	v_fma_f32 v54, v4, v10, -v16
	v_mul_f32_e32 v4, v1, v114
	v_fma_f32 v56, v0, v113, -v4
	v_add_u16_e32 v0, 0x4e, v118
	v_fmac_f32_e32 v57, v1, v113
	v_mul_lo_u16_sdwa v1, v0, s6 dst_sel:DWORD dst_unused:UNUSED_PAD src0_sel:BYTE_0 src1_sel:DWORD
	v_lshrrev_b16_e32 v70, 10, v1
	v_mul_lo_u16_e32 v1, 13, v70
	v_sub_u16_e32 v0, v0, v1
	v_and_b32_e32 v71, 0xff, v0
	v_mad_u64_u32 v[0:1], s[4:5], v71, 40, s[14:15]
	global_load_dwordx2 v[115:116], v[0:1], off offset:32
	global_load_dwordx4 v[16:19], v[0:1], off offset:16
	global_load_dwordx4 v[20:23], v[0:1], off
	v_mul_f32_e32 v53, v40, v9
	v_fmac_f32_e32 v53, v41, v8
	v_fmac_f32_e32 v55, v5, v10
	s_waitcnt vmcnt(2)
	v_mul_f32_e32 v65, v2, v116
	s_waitcnt vmcnt(1)
	v_mul_f32_e32 v59, v42, v17
	;; [unrolled: 2-line block ×3, first 2 shown]
	v_fma_f32 v58, v50, v20, -v0
	v_mul_f32_e32 v50, v50, v21
	v_mul_f32_e32 v0, v47, v23
	v_fmac_f32_e32 v50, v51, v20
	v_fma_f32 v51, v46, v22, -v0
	v_mul_f32_e32 v46, v46, v23
	v_mul_f32_e32 v0, v43, v17
	v_fmac_f32_e32 v46, v47, v22
	v_fma_f32 v47, v42, v16, -v0
	v_mul_f32_e32 v0, v7, v19
	v_fma_f32 v62, v6, v18, -v0
	v_mul_f32_e32 v0, v3, v116
	v_fma_f32 v64, v2, v115, -v0
	v_add_u16_e32 v0, 0x9c, v118
	v_mul_lo_u16_sdwa v1, v0, s6 dst_sel:DWORD dst_unused:UNUSED_PAD src0_sel:BYTE_0 src1_sel:DWORD
	v_lshrrev_b16_e32 v1, 10, v1
	v_mul_lo_u16_e32 v1, 13, v1
	v_sub_u16_e32 v120, v0, v1
	v_and_b32_e32 v40, 0xff, v120
	v_mad_u64_u32 v[41:42], s[4:5], v40, 40, s[14:15]
	v_mul_f32_e32 v63, v6, v19
	v_fmac_f32_e32 v63, v7, v18
	v_fmac_f32_e32 v65, v3, v115
	global_load_dwordx2 v[111:112], v[41:42], off offset:32
	global_load_dwordx4 v[4:7], v[41:42], off offset:16
	global_load_dwordx4 v[0:3], v[41:42], off
	v_fmac_f32_e32 v59, v43, v16
	s_waitcnt vmcnt(0)
	s_barrier
	v_mul_f32_e32 v79, v34, v112
	v_mul_f32_e32 v77, v32, v7
	;; [unrolled: 1-line block ×3, first 2 shown]
	v_fma_f32 v72, v26, v0, -v41
	v_mul_f32_e32 v73, v26, v1
	v_mul_f32_e32 v26, v37, v3
	v_fmac_f32_e32 v73, v27, v0
	v_fma_f32 v26, v36, v2, -v26
	v_mul_f32_e32 v27, v36, v3
	v_mul_f32_e32 v36, v39, v5
	v_fma_f32 v74, v38, v4, -v36
	v_mul_f32_e32 v36, v33, v7
	v_fma_f32 v76, v32, v6, -v36
	;; [unrolled: 2-line block ×3, first 2 shown]
	v_add_f32_e32 v32, v28, v49
	v_mul_f32_e32 v75, v38, v5
	v_add_f32_e32 v38, v32, v54
	v_add_f32_e32 v32, v49, v54
	v_fma_f32 v28, -0.5, v32, v28
	v_fmac_f32_e32 v75, v39, v4
	v_sub_f32_e32 v32, v44, v55
	v_mov_b32_e32 v39, v28
	v_fmac_f32_e32 v39, 0x3f5db3d7, v32
	v_fmac_f32_e32 v28, 0xbf5db3d7, v32
	v_add_f32_e32 v32, v29, v44
	v_add_f32_e32 v42, v32, v55
	;; [unrolled: 1-line block ×3, first 2 shown]
	v_fma_f32 v29, -0.5, v32, v29
	v_sub_f32_e32 v32, v49, v54
	v_mov_b32_e32 v44, v29
	v_fmac_f32_e32 v44, 0xbf5db3d7, v32
	v_fmac_f32_e32 v29, 0x3f5db3d7, v32
	v_add_f32_e32 v32, v52, v45
	v_add_f32_e32 v41, v32, v56
	;; [unrolled: 1-line block ×3, first 2 shown]
	v_fmac_f32_e32 v52, -0.5, v32
	v_fmac_f32_e32 v79, v35, v111
	v_sub_f32_e32 v32, v53, v57
	v_mov_b32_e32 v35, v52
	v_fmac_f32_e32 v35, 0x3f5db3d7, v32
	v_fmac_f32_e32 v52, 0xbf5db3d7, v32
	v_add_f32_e32 v32, v48, v53
	v_add_f32_e32 v49, v32, v57
	;; [unrolled: 1-line block ×3, first 2 shown]
	v_fmac_f32_e32 v48, -0.5, v32
	v_fmac_f32_e32 v27, v37, v2
	v_sub_f32_e32 v32, v45, v56
	v_mov_b32_e32 v37, v48
	v_fmac_f32_e32 v37, 0xbf5db3d7, v32
	v_fmac_f32_e32 v48, 0x3f5db3d7, v32
	v_mul_f32_e32 v45, -0.5, v52
	v_mul_f32_e32 v43, 0x3f5db3d7, v37
	v_fmac_f32_e32 v45, 0x3f5db3d7, v48
	v_mul_f32_e32 v53, 0xbf5db3d7, v35
	v_mul_f32_e32 v48, -0.5, v48
	v_fmac_f32_e32 v43, 0.5, v35
	v_fmac_f32_e32 v53, 0.5, v37
	v_fmac_f32_e32 v48, 0xbf5db3d7, v52
	v_fmac_f32_e32 v77, v33, v6
	v_add_f32_e32 v32, v38, v41
	v_add_f32_e32 v34, v39, v43
	;; [unrolled: 1-line block ×5, first 2 shown]
	v_sub_f32_e32 v38, v38, v41
	v_sub_f32_e32 v41, v39, v43
	;; [unrolled: 1-line block ×5, first 2 shown]
	v_add_f32_e32 v29, v51, v62
	v_fma_f32 v29, -0.5, v29, v30
	v_add_f32_e32 v36, v28, v45
	v_sub_f32_e32 v43, v28, v45
	v_add_f32_e32 v28, v30, v51
	v_sub_f32_e32 v30, v46, v63
	v_mov_b32_e32 v52, v29
	v_add_f32_e32 v45, v46, v63
	v_fmac_f32_e32 v52, 0x3f5db3d7, v30
	v_fmac_f32_e32 v29, 0xbf5db3d7, v30
	v_add_f32_e32 v30, v31, v46
	v_fmac_f32_e32 v31, -0.5, v45
	v_sub_f32_e32 v45, v51, v62
	v_mov_b32_e32 v51, v31
	v_fmac_f32_e32 v51, 0xbf5db3d7, v45
	v_fmac_f32_e32 v31, 0x3f5db3d7, v45
	v_add_f32_e32 v45, v58, v47
	v_add_f32_e32 v53, v45, v64
	;; [unrolled: 1-line block ×3, first 2 shown]
	v_fmac_f32_e32 v58, -0.5, v45
	v_sub_f32_e32 v45, v59, v65
	v_mov_b32_e32 v48, v58
	v_fmac_f32_e32 v48, 0x3f5db3d7, v45
	v_fmac_f32_e32 v58, 0xbf5db3d7, v45
	v_add_f32_e32 v45, v50, v59
	v_add_f32_e32 v54, v45, v65
	;; [unrolled: 1-line block ×3, first 2 shown]
	v_fmac_f32_e32 v50, -0.5, v45
	v_sub_f32_e32 v45, v47, v64
	v_mov_b32_e32 v55, v50
	v_fmac_f32_e32 v50, 0x3f5db3d7, v45
	v_mul_f32_e32 v57, -0.5, v58
	v_fmac_f32_e32 v57, 0x3f5db3d7, v50
	v_add_f32_e32 v28, v28, v62
	v_fmac_f32_e32 v55, 0xbf5db3d7, v45
	v_add_f32_e32 v49, v29, v57
	v_mul_f32_e32 v59, 0xbf5db3d7, v48
	v_sub_f32_e32 v66, v29, v57
	v_add_f32_e32 v29, v26, v76
	v_add_f32_e32 v45, v28, v53
	v_mul_f32_e32 v56, 0x3f5db3d7, v55
	v_fmac_f32_e32 v59, 0.5, v55
	v_sub_f32_e32 v62, v28, v53
	v_add_f32_e32 v28, v24, v26
	v_fmac_f32_e32 v24, -0.5, v29
	v_fmac_f32_e32 v56, 0.5, v48
	v_add_f32_e32 v48, v51, v59
	v_sub_f32_e32 v65, v51, v59
	v_sub_f32_e32 v29, v27, v77
	v_mov_b32_e32 v51, v24
	v_fmac_f32_e32 v51, 0x3f5db3d7, v29
	v_fmac_f32_e32 v24, 0xbf5db3d7, v29
	v_add_f32_e32 v29, v25, v27
	v_add_f32_e32 v27, v27, v77
	v_fmac_f32_e32 v25, -0.5, v27
	v_sub_f32_e32 v26, v26, v76
	v_mov_b32_e32 v57, v25
	v_add_f32_e32 v30, v30, v63
	v_fmac_f32_e32 v57, 0xbf5db3d7, v26
	v_fmac_f32_e32 v25, 0x3f5db3d7, v26
	v_add_f32_e32 v26, v72, v74
	v_add_f32_e32 v46, v30, v54
	v_sub_f32_e32 v63, v30, v54
	v_add_f32_e32 v30, v26, v78
	v_add_f32_e32 v26, v74, v78
	v_fmac_f32_e32 v72, -0.5, v26
	v_mul_f32_e32 v55, -0.5, v50
	v_sub_f32_e32 v26, v75, v79
	v_mov_b32_e32 v27, v72
	v_fmac_f32_e32 v55, 0xbf5db3d7, v58
	v_fmac_f32_e32 v27, 0x3f5db3d7, v26
	;; [unrolled: 1-line block ×3, first 2 shown]
	v_add_f32_e32 v26, v73, v75
	v_add_f32_e32 v50, v31, v55
	v_sub_f32_e32 v67, v31, v55
	v_add_f32_e32 v31, v26, v79
	v_add_f32_e32 v26, v75, v79
	v_fmac_f32_e32 v73, -0.5, v26
	v_sub_f32_e32 v26, v74, v78
	v_mov_b32_e32 v53, v73
	v_fmac_f32_e32 v73, 0x3f5db3d7, v26
	v_mul_f32_e32 v58, -0.5, v72
	v_fmac_f32_e32 v58, 0x3f5db3d7, v73
	v_add_f32_e32 v47, v52, v56
	v_sub_f32_e32 v64, v52, v56
	v_add_f32_e32 v52, v24, v58
	v_sub_f32_e32 v58, v24, v58
	v_mul_u32_u24_e32 v24, 0x4e, v68
	v_fmac_f32_e32 v53, 0xbf5db3d7, v26
	v_add_u32_e32 v24, v24, v69
	v_mul_f32_e32 v55, 0x3f5db3d7, v53
	v_mul_f32_e32 v59, 0xbf5db3d7, v27
	v_mul_f32_e32 v73, -0.5, v73
	v_lshl_add_u32 v121, v24, 3, v119
	v_mul_u32_u24_e32 v24, 0x4e, v70
	v_add_f32_e32 v28, v28, v76
	v_add_f32_e32 v29, v29, v77
	v_fmac_f32_e32 v55, 0.5, v27
	v_fmac_f32_e32 v59, 0.5, v53
	v_fmac_f32_e32 v73, 0xbf5db3d7, v72
	v_add_u32_e32 v24, v24, v71
	v_add_f32_e32 v26, v51, v55
	v_add_f32_e32 v27, v57, v59
	;; [unrolled: 1-line block ×3, first 2 shown]
	v_sub_f32_e32 v54, v28, v30
	v_sub_f32_e32 v56, v51, v55
	;; [unrolled: 1-line block ×5, first 2 shown]
	v_lshl_add_u32 v122, v24, 3, v119
	ds_write2_b64 v121, v[32:33], v[34:35] offset1:13
	ds_write2_b64 v121, v[36:37], v[38:39] offset0:26 offset1:39
	ds_write2_b64 v121, v[41:42], v[43:44] offset0:52 offset1:65
	ds_write2_b64 v122, v[45:46], v[47:48] offset1:13
	ds_write2_b64 v122, v[49:50], v[62:63] offset0:26 offset1:39
	ds_write2_b64 v122, v[64:65], v[66:67] offset0:52 offset1:65
	s_and_saveexec_b64 s[4:5], vcc
	s_cbranch_execz .LBB0_5
; %bb.4:
	v_add_f32_e32 v24, v28, v30
	v_lshl_add_u32 v28, v40, 3, v119
	v_add_f32_e32 v25, v29, v31
	v_add_u32_e32 v28, 0x1800, v28
	ds_write2_b64 v28, v[24:25], v[26:27] offset0:168 offset1:181
	ds_write2_b64 v28, v[52:53], v[54:55] offset0:194 offset1:207
	ds_write2_b64 v28, v[56:57], v[58:59] offset0:220 offset1:233
.LBB0_5:
	s_or_b64 exec, exec, s[4:5]
	v_mov_b32_e32 v25, s15
	s_movk_i32 s4, 0x60
	v_mov_b32_e32 v24, s14
	v_mad_u64_u32 v[24:25], s[4:5], v118, s4, v[24:25]
	s_waitcnt lgkmcnt(0)
	s_barrier
	global_load_dwordx4 v[44:47], v[24:25], off offset:520
	global_load_dwordx4 v[36:39], v[24:25], off offset:536
	;; [unrolled: 1-line block ×6, first 2 shown]
	ds_read2_b64 v[67:70], v117 offset1:78
	ds_read2_b64 v[71:74], v117 offset0:156 offset1:234
	ds_read_b64 v[62:63], v117 offset:7488
	v_add_u32_e32 v66, 0x800, v117
	v_add_u32_e32 v65, 0xc00, v117
	;; [unrolled: 1-line block ×4, first 2 shown]
	ds_read2_b64 v[75:78], v66 offset0:56 offset1:134
	ds_read2_b64 v[79:82], v65 offset0:84 offset1:162
	;; [unrolled: 1-line block ×4, first 2 shown]
	v_mov_b32_e32 v24, s13
	s_mov_b32 s6, 0x3f62ad3f
	s_mov_b32 s5, 0x3f116cb1
	;; [unrolled: 1-line block ×6, first 2 shown]
	s_movk_i32 s14, 0x1000
	v_addc_co_u32_e64 v24, s[0:1], 0, v24, s[0:1]
	s_movk_i32 s15, 0x1fb0
	s_waitcnt vmcnt(5) lgkmcnt(6)
	v_mul_f32_e32 v25, v70, v45
	v_mul_f32_e32 v83, v69, v45
	s_waitcnt lgkmcnt(5)
	v_mul_f32_e32 v132, v72, v47
	v_mul_f32_e32 v133, v71, v47
	s_waitcnt vmcnt(4)
	v_mul_f32_e32 v134, v74, v37
	s_waitcnt vmcnt(3) lgkmcnt(2)
	v_mul_f32_e32 v140, v80, v35
	s_waitcnt vmcnt(0)
	v_mul_f32_e32 v152, v63, v43
	v_mul_f32_e32 v153, v62, v43
	v_fma_f32 v25, v69, v44, -v25
	v_fmac_f32_e32 v83, v70, v44
	v_mul_f32_e32 v135, v73, v37
	v_mul_f32_e32 v141, v79, v35
	v_fma_f32 v69, v71, v46, -v132
	v_fmac_f32_e32 v133, v72, v46
	v_fma_f32 v70, v73, v36, -v134
	v_fma_f32 v73, v79, v34, -v140
	;; [unrolled: 1-line block ×3, first 2 shown]
	v_fmac_f32_e32 v153, v63, v42
	v_add_f32_e32 v62, v67, v25
	v_add_f32_e32 v63, v68, v83
	v_mul_f32_e32 v136, v76, v39
	v_mul_f32_e32 v137, v75, v39
	v_fmac_f32_e32 v135, v74, v36
	v_add_f32_e32 v62, v62, v69
	v_add_f32_e32 v63, v63, v133
	v_mul_f32_e32 v138, v78, v33
	v_mul_f32_e32 v139, v77, v33
	v_fma_f32 v71, v75, v38, -v136
	v_fmac_f32_e32 v137, v76, v38
	v_add_f32_e32 v62, v62, v70
	v_add_f32_e32 v63, v63, v135
	v_fma_f32 v72, v77, v32, -v138
	v_fmac_f32_e32 v139, v78, v32
	v_add_f32_e32 v62, v62, v71
	v_add_f32_e32 v63, v63, v137
	v_mul_f32_e32 v142, v82, v29
	v_mul_f32_e32 v143, v81, v29
	v_fmac_f32_e32 v141, v80, v34
	v_add_f32_e32 v62, v62, v72
	v_add_f32_e32 v63, v63, v139
	s_waitcnt lgkmcnt(1)
	v_mul_f32_e32 v144, v125, v31
	v_mul_f32_e32 v145, v124, v31
	v_fma_f32 v74, v81, v28, -v142
	v_fmac_f32_e32 v143, v82, v28
	v_add_f32_e32 v62, v62, v73
	v_add_f32_e32 v63, v63, v141
	v_mul_f32_e32 v146, v127, v49
	v_mul_f32_e32 v147, v126, v49
	v_fma_f32 v75, v124, v30, -v144
	v_fmac_f32_e32 v145, v125, v30
	v_add_f32_e32 v62, v62, v74
	v_add_f32_e32 v63, v63, v143
	s_waitcnt lgkmcnt(0)
	v_mul_f32_e32 v148, v129, v51
	v_mul_f32_e32 v149, v128, v51
	v_fma_f32 v76, v126, v48, -v146
	v_fmac_f32_e32 v147, v127, v48
	v_add_f32_e32 v62, v62, v75
	v_add_f32_e32 v63, v63, v145
	v_mul_f32_e32 v150, v131, v41
	v_mul_f32_e32 v151, v130, v41
	v_fma_f32 v77, v128, v50, -v148
	v_fmac_f32_e32 v149, v129, v50
	v_add_f32_e32 v62, v62, v76
	v_add_f32_e32 v63, v63, v147
	v_fma_f32 v78, v130, v40, -v150
	v_fmac_f32_e32 v151, v131, v40
	v_add_f32_e32 v62, v62, v77
	v_add_f32_e32 v63, v63, v149
	;; [unrolled: 1-line block ×3, first 2 shown]
	v_sub_f32_e32 v25, v25, v79
	v_add_f32_e32 v62, v62, v78
	v_add_f32_e32 v63, v63, v151
	v_mul_f32_e32 v124, 0xbeedf032, v25
	v_mul_f32_e32 v128, 0xbf52af12, v25
	;; [unrolled: 1-line block ×6, first 2 shown]
	v_add_f32_e32 v62, v62, v79
	v_add_f32_e32 v63, v63, v153
	;; [unrolled: 1-line block ×3, first 2 shown]
	v_sub_f32_e32 v79, v83, v153
	v_mov_b32_e32 v125, v124
	v_mov_b32_e32 v129, v128
	;; [unrolled: 1-line block ×6, first 2 shown]
	v_fmac_f32_e32 v125, 0x3f62ad3f, v81
	v_fma_f32 v124, v81, s6, -v124
	v_fmac_f32_e32 v129, 0x3f116cb1, v81
	v_fma_f32 v128, v81, s5, -v128
	;; [unrolled: 2-line block ×6, first 2 shown]
	v_mul_f32_e32 v82, 0xbeedf032, v79
	v_add_f32_e32 v125, v68, v125
	v_add_f32_e32 v124, v68, v124
	v_mul_f32_e32 v126, 0xbf52af12, v79
	v_add_f32_e32 v129, v68, v129
	v_add_f32_e32 v128, v68, v128
	;; [unrolled: 3-line block ×6, first 2 shown]
	v_add_f32_e32 v68, v69, v78
	v_sub_f32_e32 v69, v69, v78
	v_sub_f32_e32 v78, v133, v151
	v_fma_f32 v83, v80, s6, -v82
	v_fmac_f32_e32 v82, 0x3f62ad3f, v80
	v_fma_f32 v127, v80, s5, -v126
	v_fmac_f32_e32 v126, 0x3f116cb1, v80
	;; [unrolled: 2-line block ×6, first 2 shown]
	v_mul_f32_e32 v80, 0xbf52af12, v78
	v_add_f32_e32 v83, v67, v83
	v_fma_f32 v81, v68, s5, -v80
	v_add_f32_e32 v82, v67, v82
	v_add_f32_e32 v127, v67, v127
	;; [unrolled: 1-line block ×13, first 2 shown]
	v_mul_f32_e32 v83, 0xbf52af12, v69
	v_fmac_f32_e32 v80, 0x3f116cb1, v68
	v_mov_b32_e32 v133, v83
	v_add_f32_e32 v80, v80, v82
	v_fma_f32 v82, v79, s5, -v83
	v_mul_f32_e32 v83, 0xbf6f5d39, v78
	v_add_f32_e32 v82, v82, v124
	v_fma_f32 v124, v68, s7, -v83
	v_fmac_f32_e32 v133, 0x3f116cb1, v79
	v_add_f32_e32 v124, v124, v127
	v_mul_f32_e32 v127, 0xbf6f5d39, v69
	v_fmac_f32_e32 v83, 0xbeb58ec6, v68
	v_add_f32_e32 v125, v133, v125
	v_mov_b32_e32 v133, v127
	v_add_f32_e32 v83, v83, v126
	v_fma_f32 v126, v79, s7, -v127
	v_mul_f32_e32 v127, 0xbe750f2a, v78
	v_add_f32_e32 v126, v126, v128
	v_fma_f32 v128, v68, s13, -v127
	v_fmac_f32_e32 v133, 0xbeb58ec6, v79
	v_add_f32_e32 v128, v128, v131
	v_mul_f32_e32 v131, 0xbe750f2a, v69
	v_add_f32_e32 v129, v133, v129
	v_mov_b32_e32 v133, v131
	v_fmac_f32_e32 v127, 0xbf788fa5, v68
	v_fmac_f32_e32 v133, 0xbf788fa5, v79
	v_add_f32_e32 v127, v127, v130
	v_fma_f32 v130, v79, s13, -v131
	v_mul_f32_e32 v131, 0x3f29c268, v78
	v_add_f32_e32 v133, v133, v134
	v_add_f32_e32 v130, v130, v132
	v_fma_f32 v132, v68, s12, -v131
	v_mul_f32_e32 v134, 0x3f29c268, v69
	v_add_f32_e32 v132, v132, v138
	v_mov_b32_e32 v138, v134
	v_fmac_f32_e32 v131, 0xbf3f9e67, v68
	v_fmac_f32_e32 v138, 0xbf3f9e67, v79
	v_add_f32_e32 v131, v131, v136
	v_fma_f32 v134, v79, s12, -v134
	v_mul_f32_e32 v136, 0x3f7e222b, v78
	v_add_f32_e32 v138, v138, v142
	v_add_f32_e32 v134, v134, v140
	v_fma_f32 v140, v68, s4, -v136
	v_mul_f32_e32 v142, 0x3f7e222b, v69
	v_fmac_f32_e32 v136, 0x3df6dbef, v68
	v_mul_f32_e32 v78, 0x3eedf032, v78
	v_mul_f32_e32 v69, 0x3eedf032, v69
	v_add_f32_e32 v136, v136, v144
	v_fma_f32 v144, v68, s6, -v78
	v_fmac_f32_e32 v78, 0x3f62ad3f, v68
	v_fma_f32 v68, v79, s6, -v69
	v_add_f32_e32 v140, v140, v146
	v_mov_b32_e32 v146, v142
	v_fma_f32 v142, v79, s4, -v142
	v_add_f32_e32 v25, v68, v25
	v_add_f32_e32 v68, v70, v77
	v_sub_f32_e32 v70, v70, v77
	v_sub_f32_e32 v77, v135, v149
	v_add_f32_e32 v142, v142, v148
	v_mov_b32_e32 v148, v69
	v_add_f32_e32 v67, v78, v67
	v_mul_f32_e32 v78, 0xbf7e222b, v77
	v_fmac_f32_e32 v146, 0x3df6dbef, v79
	v_fmac_f32_e32 v148, 0x3f62ad3f, v79
	v_fma_f32 v79, v68, s4, -v78
	v_add_f32_e32 v69, v135, v149
	v_add_f32_e32 v79, v79, v81
	v_mul_f32_e32 v81, 0xbf7e222b, v70
	v_fmac_f32_e32 v78, 0x3df6dbef, v68
	v_mov_b32_e32 v135, v81
	v_add_f32_e32 v78, v78, v80
	v_fma_f32 v80, v69, s4, -v81
	v_mul_f32_e32 v81, 0xbe750f2a, v77
	v_add_f32_e32 v80, v80, v82
	v_fma_f32 v82, v68, s13, -v81
	v_fmac_f32_e32 v135, 0x3df6dbef, v69
	v_add_f32_e32 v82, v82, v124
	v_mul_f32_e32 v124, 0xbe750f2a, v70
	v_fmac_f32_e32 v81, 0xbf788fa5, v68
	v_add_f32_e32 v125, v135, v125
	v_mov_b32_e32 v135, v124
	v_add_f32_e32 v81, v81, v83
	v_fma_f32 v83, v69, s13, -v124
	v_mul_f32_e32 v124, 0x3f6f5d39, v77
	v_add_f32_e32 v83, v83, v126
	v_fma_f32 v126, v68, s7, -v124
	v_fmac_f32_e32 v135, 0xbf788fa5, v69
	v_add_f32_e32 v126, v126, v128
	v_mul_f32_e32 v128, 0x3f6f5d39, v70
	v_fmac_f32_e32 v124, 0xbeb58ec6, v68
	v_add_f32_e32 v129, v135, v129
	v_mov_b32_e32 v135, v128
	v_add_f32_e32 v124, v124, v127
	v_fma_f32 v127, v69, s7, -v128
	v_mul_f32_e32 v128, 0x3eedf032, v77
	v_add_f32_e32 v127, v127, v130
	v_fma_f32 v130, v68, s6, -v128
	v_fmac_f32_e32 v135, 0xbeb58ec6, v69
	v_add_f32_e32 v130, v130, v132
	v_mul_f32_e32 v132, 0x3eedf032, v70
	v_add_f32_e32 v133, v135, v133
	v_mov_b32_e32 v135, v132
	v_fmac_f32_e32 v128, 0x3f62ad3f, v68
	v_fmac_f32_e32 v135, 0x3f62ad3f, v69
	v_add_f32_e32 v128, v128, v131
	v_fma_f32 v131, v69, s6, -v132
	v_mul_f32_e32 v132, 0xbf52af12, v77
	v_add_f32_e32 v135, v135, v138
	v_add_f32_e32 v131, v131, v134
	v_fma_f32 v134, v68, s5, -v132
	v_mul_f32_e32 v138, 0xbf52af12, v70
	v_fmac_f32_e32 v132, 0x3f116cb1, v68
	v_mul_f32_e32 v77, 0xbf29c268, v77
	v_mul_f32_e32 v70, 0xbf29c268, v70
	v_add_f32_e32 v134, v134, v140
	v_mov_b32_e32 v140, v138
	v_add_f32_e32 v132, v132, v136
	v_fma_f32 v136, v69, s5, -v138
	v_fma_f32 v138, v68, s12, -v77
	v_fmac_f32_e32 v77, 0xbf3f9e67, v68
	v_fma_f32 v68, v69, s12, -v70
	v_add_f32_e32 v136, v136, v142
	v_mov_b32_e32 v142, v70
	v_add_f32_e32 v25, v68, v25
	v_add_f32_e32 v68, v71, v76
	v_sub_f32_e32 v70, v71, v76
	v_sub_f32_e32 v71, v137, v147
	v_mul_f32_e32 v76, 0xbf6f5d39, v71
	v_add_f32_e32 v67, v77, v67
	v_fma_f32 v77, v68, s7, -v76
	v_fmac_f32_e32 v140, 0x3f116cb1, v69
	v_fmac_f32_e32 v142, 0xbf3f9e67, v69
	v_add_f32_e32 v69, v137, v147
	v_add_f32_e32 v77, v77, v79
	v_mul_f32_e32 v79, 0xbf6f5d39, v70
	v_fmac_f32_e32 v76, 0xbeb58ec6, v68
	v_mov_b32_e32 v137, v79
	v_add_f32_e32 v76, v76, v78
	v_fma_f32 v78, v69, s7, -v79
	v_mul_f32_e32 v79, 0x3f29c268, v71
	v_add_f32_e32 v78, v78, v80
	v_fma_f32 v80, v68, s12, -v79
	v_fmac_f32_e32 v137, 0xbeb58ec6, v69
	v_add_f32_e32 v80, v80, v82
	v_mul_f32_e32 v82, 0x3f29c268, v70
	v_fmac_f32_e32 v79, 0xbf3f9e67, v68
	v_add_f32_e32 v125, v137, v125
	v_mov_b32_e32 v137, v82
	v_add_f32_e32 v79, v79, v81
	v_fma_f32 v81, v69, s12, -v82
	v_mul_f32_e32 v82, 0x3eedf032, v71
	v_add_f32_e32 v81, v81, v83
	v_fma_f32 v83, v68, s6, -v82
	v_fmac_f32_e32 v137, 0xbf3f9e67, v69
	v_add_f32_e32 v83, v83, v126
	v_mul_f32_e32 v126, 0x3eedf032, v70
	v_fmac_f32_e32 v82, 0x3f62ad3f, v68
	v_add_f32_e32 v129, v137, v129
	;; [unrolled: 11-line block ×3, first 2 shown]
	v_mov_b32_e32 v137, v130
	v_add_f32_e32 v126, v126, v128
	v_fma_f32 v128, v69, s4, -v130
	v_mul_f32_e32 v130, 0x3e750f2a, v71
	v_add_f32_e32 v128, v128, v131
	v_fma_f32 v131, v68, s13, -v130
	v_fmac_f32_e32 v137, 0x3df6dbef, v69
	v_add_f32_e32 v131, v131, v134
	v_mul_f32_e32 v134, 0x3e750f2a, v70
	v_fmac_f32_e32 v130, 0xbf788fa5, v68
	v_mul_f32_e32 v71, 0x3f52af12, v71
	v_add_f32_e32 v135, v137, v135
	v_mov_b32_e32 v137, v134
	v_add_f32_e32 v130, v130, v132
	v_fma_f32 v132, v69, s13, -v134
	v_fma_f32 v134, v68, s5, -v71
	v_mul_f32_e32 v70, 0x3f52af12, v70
	v_fmac_f32_e32 v71, 0x3f116cb1, v68
	v_add_f32_e32 v67, v71, v67
	v_fma_f32 v68, v69, s5, -v70
	v_sub_f32_e32 v71, v139, v145
	v_add_f32_e32 v132, v132, v136
	v_mov_b32_e32 v136, v70
	v_add_f32_e32 v25, v68, v25
	v_add_f32_e32 v68, v72, v75
	v_sub_f32_e32 v70, v72, v75
	v_mul_f32_e32 v72, 0xbf29c268, v71
	v_add_f32_e32 v144, v144, v152
	v_fma_f32 v75, v68, s12, -v72
	v_add_f32_e32 v138, v138, v144
	v_fmac_f32_e32 v137, 0xbf788fa5, v69
	v_fmac_f32_e32 v136, 0x3f116cb1, v69
	v_add_f32_e32 v69, v139, v145
	v_add_f32_e32 v75, v75, v77
	v_mul_f32_e32 v77, 0xbf29c268, v70
	v_fmac_f32_e32 v72, 0xbf3f9e67, v68
	v_add_f32_e32 v134, v134, v138
	v_mov_b32_e32 v138, v77
	v_add_f32_e32 v72, v72, v76
	v_fma_f32 v76, v69, s12, -v77
	v_mul_f32_e32 v77, 0x3f7e222b, v71
	v_add_f32_e32 v76, v76, v78
	v_fma_f32 v78, v68, s4, -v77
	v_fmac_f32_e32 v138, 0xbf3f9e67, v69
	v_add_f32_e32 v78, v78, v80
	v_mul_f32_e32 v80, 0x3f7e222b, v70
	v_fmac_f32_e32 v77, 0x3df6dbef, v68
	v_add_f32_e32 v125, v138, v125
	v_mov_b32_e32 v138, v80
	v_add_f32_e32 v77, v77, v79
	v_fma_f32 v79, v69, s4, -v80
	v_mul_f32_e32 v80, 0xbf52af12, v71
	v_add_f32_e32 v79, v79, v81
	v_fma_f32 v81, v68, s5, -v80
	v_fmac_f32_e32 v138, 0x3df6dbef, v69
	;; [unrolled: 11-line block ×3, first 2 shown]
	v_add_f32_e32 v124, v124, v127
	v_mul_f32_e32 v127, 0x3e750f2a, v70
	v_fmac_f32_e32 v83, 0xbf788fa5, v68
	v_add_f32_e32 v133, v138, v133
	v_mov_b32_e32 v138, v127
	v_add_f32_e32 v83, v83, v126
	v_fma_f32 v126, v69, s13, -v127
	v_mul_f32_e32 v127, 0x3eedf032, v71
	v_add_f32_e32 v126, v126, v128
	v_fma_f32 v128, v68, s6, -v127
	v_add_f32_e32 v128, v128, v131
	v_mul_f32_e32 v131, 0x3eedf032, v70
	v_fmac_f32_e32 v127, 0x3f62ad3f, v68
	v_add_f32_e32 v146, v146, v150
	v_add_f32_e32 v148, v148, v153
	;; [unrolled: 1-line block ×3, first 2 shown]
	v_fma_f32 v130, v69, s6, -v131
	v_mul_f32_e32 v70, 0xbf6f5d39, v70
	v_add_f32_e32 v140, v140, v146
	v_add_f32_e32 v142, v142, v148
	;; [unrolled: 1-line block ×3, first 2 shown]
	v_mov_b32_e32 v132, v70
	v_add_f32_e32 v137, v137, v140
	v_add_f32_e32 v136, v136, v142
	v_fmac_f32_e32 v138, 0xbf788fa5, v69
	v_mul_f32_e32 v71, 0xbf6f5d39, v71
	v_fmac_f32_e32 v132, 0xbeb58ec6, v69
	v_sub_f32_e32 v140, v141, v143
	v_add_f32_e32 v135, v138, v135
	v_mov_b32_e32 v138, v131
	v_fma_f32 v131, v68, s7, -v71
	v_add_f32_e32 v132, v132, v136
	v_fmac_f32_e32 v71, 0xbeb58ec6, v68
	v_add_f32_e32 v136, v73, v74
	v_sub_f32_e32 v139, v73, v74
	v_mul_f32_e32 v73, 0x3eedf032, v140
	v_fmac_f32_e32 v138, 0x3f62ad3f, v69
	v_add_f32_e32 v131, v131, v134
	v_add_f32_e32 v134, v71, v67
	v_fma_f32 v67, v69, s7, -v70
	v_mul_f32_e32 v69, 0xbe750f2a, v140
	v_fma_f32 v71, v136, s6, -v73
	v_fmac_f32_e32 v73, 0x3f62ad3f, v136
	v_add_f32_e32 v25, v67, v25
	v_fma_f32 v67, v136, s13, -v69
	v_add_f32_e32 v73, v73, v77
	v_mul_f32_e32 v77, 0xbf29c268, v140
	v_add_f32_e32 v137, v138, v137
	v_add_f32_e32 v138, v141, v143
	;; [unrolled: 1-line block ×3, first 2 shown]
	v_fmac_f32_e32 v69, 0xbf788fa5, v136
	v_mul_f32_e32 v74, 0x3eedf032, v139
	v_fma_f32 v75, v136, s12, -v77
	v_mul_f32_e32 v70, 0xbe750f2a, v139
	v_add_f32_e32 v69, v69, v72
	v_mov_b32_e32 v72, v74
	v_fma_f32 v74, v138, s6, -v74
	v_add_f32_e32 v75, v75, v81
	v_mul_f32_e32 v81, 0x3f52af12, v140
	v_mov_b32_e32 v68, v70
	v_fma_f32 v70, v138, s13, -v70
	v_add_f32_e32 v71, v71, v78
	v_add_f32_e32 v74, v74, v79
	v_mul_f32_e32 v78, 0xbf29c268, v139
	v_fma_f32 v79, v136, s5, -v81
	v_fmac_f32_e32 v81, 0x3f116cb1, v136
	v_add_f32_e32 v70, v70, v76
	v_mov_b32_e32 v76, v78
	v_fma_f32 v78, v138, s12, -v78
	v_add_f32_e32 v81, v81, v83
	v_mul_f32_e32 v83, 0xbf6f5d39, v140
	v_fmac_f32_e32 v77, 0xbf3f9e67, v136
	v_add_f32_e32 v78, v78, v82
	v_add_f32_e32 v79, v79, v124
	v_mul_f32_e32 v82, 0x3f52af12, v139
	v_fma_f32 v124, v136, s7, -v83
	v_add_f32_e32 v77, v77, v80
	v_mov_b32_e32 v80, v82
	v_fma_f32 v82, v138, s5, -v82
	v_add_f32_e32 v124, v124, v128
	v_mul_f32_e32 v128, 0xbf6f5d39, v139
	v_fmac_f32_e32 v83, 0xbeb58ec6, v136
	v_add_f32_e32 v82, v82, v126
	v_add_f32_e32 v126, v83, v127
	v_fma_f32 v83, v138, s7, -v128
	v_fmac_f32_e32 v68, 0xbf788fa5, v138
	v_add_f32_e32 v127, v83, v130
	v_mul_f32_e32 v83, 0x3f7e222b, v140
	v_add_f32_e32 v68, v68, v125
	v_mov_b32_e32 v125, v128
	v_fma_f32 v128, v136, s4, -v83
	v_fmac_f32_e32 v72, 0x3f62ad3f, v138
	v_add_f32_e32 v128, v128, v131
	v_mul_f32_e32 v131, 0x3f7e222b, v139
	v_add_f32_e32 v72, v72, v129
	v_mov_b32_e32 v129, v131
	v_fmac_f32_e32 v83, 0x3df6dbef, v136
	v_fmac_f32_e32 v76, 0xbf3f9e67, v138
	;; [unrolled: 1-line block ×5, first 2 shown]
	v_add_f32_e32 v130, v83, v134
	v_fma_f32 v83, v138, s4, -v131
	v_add_f32_e32 v76, v76, v133
	v_add_f32_e32 v80, v80, v135
	;; [unrolled: 1-line block ×5, first 2 shown]
	ds_write2_b64 v117, v[62:63], v[67:68] offset1:78
	ds_write2_b64 v117, v[71:72], v[75:76] offset0:156 offset1:234
	ds_write2_b64 v66, v[79:80], v[124:125] offset0:56 offset1:134
	;; [unrolled: 1-line block ×5, first 2 shown]
	ds_write_b64 v117, v[69:70] offset:7488
	v_add_co_u32_e64 v62, s[0:1], s14, v60
	v_addc_co_u32_e64 v63, s[0:1], 0, v24, s[0:1]
	s_waitcnt lgkmcnt(0)
	s_barrier
	global_load_dwordx2 v[62:63], v[62:63], off offset:4016
	v_add_co_u32_e64 v67, s[0:1], s15, v60
	v_addc_co_u32_e64 v68, s[0:1], 0, v24, s[0:1]
	global_load_dwordx2 v[75:76], v[67:68], off offset:624
	global_load_dwordx2 v[77:78], v[67:68], off offset:1248
	;; [unrolled: 1-line block ×6, first 2 shown]
	s_movk_i32 s0, 0x3000
	v_add_co_u32_e64 v67, s[0:1], s0, v60
	v_addc_co_u32_e64 v68, s[0:1], 0, v24, s[0:1]
	global_load_dwordx2 v[24:25], v[67:68], off offset:192
	global_load_dwordx2 v[128:129], v[67:68], off offset:816
	global_load_dwordx2 v[130:131], v[67:68], off offset:1440
	global_load_dwordx2 v[132:133], v[67:68], off offset:2064
	global_load_dwordx2 v[134:135], v[67:68], off offset:2688
	global_load_dwordx2 v[136:137], v[67:68], off offset:3312
	ds_read2_b64 v[67:70], v117 offset1:78
	ds_read2_b64 v[71:74], v117 offset0:156 offset1:234
	s_waitcnt vmcnt(12) lgkmcnt(1)
	v_mul_f32_e32 v60, v68, v63
	v_fma_f32 v138, v67, v62, -v60
	v_mul_f32_e32 v139, v67, v63
	s_waitcnt vmcnt(11)
	v_mul_f32_e32 v60, v70, v76
	v_mul_f32_e32 v63, v69, v76
	v_fmac_f32_e32 v139, v68, v62
	v_fma_f32 v62, v69, v75, -v60
	v_fmac_f32_e32 v63, v70, v75
	ds_read2_b64 v[67:70], v66 offset0:56 offset1:134
	ds_write2_b64 v117, v[138:139], v[62:63] offset1:78
	s_waitcnt vmcnt(10) lgkmcnt(2)
	v_mul_f32_e32 v60, v72, v78
	v_mul_f32_e32 v63, v71, v78
	v_fma_f32 v62, v71, v77, -v60
	v_fmac_f32_e32 v63, v72, v77
	s_waitcnt vmcnt(9)
	v_mul_f32_e32 v60, v74, v80
	v_mul_f32_e32 v72, v73, v80
	v_fma_f32 v71, v73, v79, -v60
	v_fmac_f32_e32 v72, v74, v79
	ds_write2_b64 v117, v[62:63], v[71:72] offset0:156 offset1:234
	s_waitcnt vmcnt(8) lgkmcnt(2)
	v_mul_f32_e32 v60, v68, v82
	v_mul_f32_e32 v63, v67, v82
	ds_read2_b64 v[71:74], v65 offset0:84 offset1:162
	v_fma_f32 v62, v67, v81, -v60
	v_fmac_f32_e32 v63, v68, v81
	s_waitcnt vmcnt(7)
	v_mul_f32_e32 v60, v70, v125
	v_mul_f32_e32 v68, v69, v125
	v_fma_f32 v67, v69, v124, -v60
	v_fmac_f32_e32 v68, v70, v124
	ds_write2_b64 v66, v[62:63], v[67:68] offset0:56 offset1:134
	ds_read2_b64 v[67:70], v64 offset0:112 offset1:190
	s_waitcnt vmcnt(6) lgkmcnt(2)
	v_mul_f32_e32 v60, v72, v127
	v_mul_f32_e32 v63, v71, v127
	v_fma_f32 v62, v71, v126, -v60
	v_fmac_f32_e32 v63, v72, v126
	s_waitcnt vmcnt(5)
	v_mul_f32_e32 v60, v74, v25
	v_mul_f32_e32 v72, v73, v25
	v_fma_f32 v71, v73, v24, -v60
	v_fmac_f32_e32 v72, v74, v24
	ds_write2_b64 v65, v[62:63], v[71:72] offset0:84 offset1:162
	s_waitcnt vmcnt(4) lgkmcnt(1)
	v_mul_f32_e32 v24, v68, v129
	v_mul_f32_e32 v25, v67, v129
	s_waitcnt vmcnt(3)
	v_mul_f32_e32 v60, v70, v131
	ds_read2_b64 v[71:74], v123 offset0:12 offset1:90
	v_mul_f32_e32 v63, v69, v131
	v_fma_f32 v24, v67, v128, -v24
	v_fmac_f32_e32 v25, v68, v128
	v_fma_f32 v62, v69, v130, -v60
	v_fmac_f32_e32 v63, v70, v130
	ds_write2_b64 v64, v[24:25], v[62:63] offset0:112 offset1:190
	ds_read_b64 v[62:63], v117 offset:7488
	s_waitcnt vmcnt(2) lgkmcnt(2)
	v_mul_f32_e32 v24, v72, v133
	v_mul_f32_e32 v25, v71, v133
	s_waitcnt vmcnt(1)
	v_mul_f32_e32 v60, v74, v135
	v_mul_f32_e32 v68, v73, v135
	v_fma_f32 v24, v71, v132, -v24
	v_fmac_f32_e32 v25, v72, v132
	v_fma_f32 v67, v73, v134, -v60
	v_fmac_f32_e32 v68, v74, v134
	ds_write2_b64 v123, v[24:25], v[67:68] offset0:12 offset1:90
	s_waitcnt vmcnt(0) lgkmcnt(1)
	v_mul_f32_e32 v24, v63, v137
	v_mul_f32_e32 v25, v62, v137
	v_fma_f32 v24, v62, v136, -v24
	v_fmac_f32_e32 v25, v63, v136
	ds_write_b64 v117, v[24:25] offset:7488
	s_waitcnt lgkmcnt(0)
	s_barrier
	ds_read2_b64 v[67:70], v117 offset1:78
	ds_read2_b64 v[71:74], v117 offset0:156 offset1:234
	ds_read2_b64 v[75:78], v66 offset0:56 offset1:134
	;; [unrolled: 1-line block ×5, first 2 shown]
	ds_read_b64 v[24:25], v117 offset:7488
	s_waitcnt lgkmcnt(6)
	v_add_f32_e32 v62, v68, v70
	v_add_f32_e32 v60, v67, v69
	s_waitcnt lgkmcnt(5)
	v_add_f32_e32 v62, v62, v72
	v_add_f32_e32 v60, v60, v71
	v_add_f32_e32 v62, v62, v74
	v_add_f32_e32 v60, v60, v73
	s_waitcnt lgkmcnt(4)
	v_add_f32_e32 v62, v62, v76
	v_add_f32_e32 v60, v60, v75
	;; [unrolled: 5-line block ×5, first 2 shown]
	v_add_f32_e32 v63, v62, v131
	s_waitcnt lgkmcnt(0)
	v_add_f32_e32 v83, v25, v70
	v_add_f32_e32 v60, v60, v130
	;; [unrolled: 1-line block ×3, first 2 shown]
	v_sub_f32_e32 v25, v70, v25
	v_mul_f32_e32 v132, 0x3f62ad3f, v83
	v_mul_f32_e32 v136, 0x3f116cb1, v83
	;; [unrolled: 1-line block ×6, first 2 shown]
	v_add_f32_e32 v62, v60, v24
	v_add_f32_e32 v60, v24, v69
	v_sub_f32_e32 v24, v69, v24
	v_mul_f32_e32 v69, 0xbeedf032, v25
	v_mov_b32_e32 v133, v132
	v_mul_f32_e32 v134, 0xbf52af12, v25
	v_mov_b32_e32 v137, v136
	;; [unrolled: 2-line block ×6, first 2 shown]
	v_mov_b32_e32 v70, v69
	v_fmac_f32_e32 v133, 0x3eedf032, v24
	v_fmac_f32_e32 v132, 0xbeedf032, v24
	v_mov_b32_e32 v135, v134
	v_fmac_f32_e32 v137, 0x3f52af12, v24
	v_fmac_f32_e32 v136, 0xbf52af12, v24
	;; [unrolled: 3-line block ×6, first 2 shown]
	v_fmac_f32_e32 v70, 0x3f62ad3f, v60
	v_add_f32_e32 v133, v68, v133
	v_fma_f32 v69, v60, s6, -v69
	v_add_f32_e32 v132, v68, v132
	v_fmac_f32_e32 v135, 0x3f116cb1, v60
	v_add_f32_e32 v137, v68, v137
	v_fma_f32 v134, v60, s5, -v134
	v_add_f32_e32 v136, v68, v136
	;; [unrolled: 4-line block ×6, first 2 shown]
	v_add_f32_e32 v60, v130, v71
	v_sub_f32_e32 v68, v71, v130
	v_sub_f32_e32 v71, v72, v131
	v_add_f32_e32 v70, v67, v70
	v_add_f32_e32 v69, v67, v69
	;; [unrolled: 1-line block ×13, first 2 shown]
	v_mul_f32_e32 v72, 0xbf52af12, v71
	v_mov_b32_e32 v83, v72
	v_fmac_f32_e32 v83, 0x3f116cb1, v60
	v_add_f32_e32 v70, v83, v70
	v_mul_f32_e32 v83, 0x3f116cb1, v67
	v_mov_b32_e32 v130, v83
	v_fma_f32 v72, v60, s5, -v72
	v_fmac_f32_e32 v83, 0xbf52af12, v68
	v_add_f32_e32 v69, v72, v69
	v_add_f32_e32 v72, v83, v132
	v_mul_f32_e32 v83, 0xbf6f5d39, v71
	v_mov_b32_e32 v131, v83
	v_fma_f32 v83, v60, s7, -v83
	v_fmac_f32_e32 v130, 0x3f52af12, v68
	v_fmac_f32_e32 v131, 0xbeb58ec6, v60
	v_mul_f32_e32 v132, 0xbeb58ec6, v67
	v_add_f32_e32 v83, v83, v134
	v_mul_f32_e32 v134, 0xbe750f2a, v71
	v_add_f32_e32 v130, v130, v133
	v_add_f32_e32 v131, v131, v135
	v_mov_b32_e32 v133, v132
	v_fmac_f32_e32 v132, 0xbf6f5d39, v68
	v_mov_b32_e32 v135, v134
	v_fma_f32 v134, v60, s13, -v134
	v_fmac_f32_e32 v133, 0x3f6f5d39, v68
	v_add_f32_e32 v132, v132, v136
	v_fmac_f32_e32 v135, 0xbf788fa5, v60
	v_mul_f32_e32 v136, 0xbf788fa5, v67
	v_add_f32_e32 v134, v134, v138
	v_mul_f32_e32 v138, 0x3f29c268, v71
	v_add_f32_e32 v133, v133, v137
	v_add_f32_e32 v135, v135, v139
	v_mov_b32_e32 v137, v136
	v_fmac_f32_e32 v136, 0xbe750f2a, v68
	v_mov_b32_e32 v139, v138
	v_fma_f32 v138, v60, s12, -v138
	v_fmac_f32_e32 v137, 0x3e750f2a, v68
	v_add_f32_e32 v136, v136, v140
	v_fmac_f32_e32 v139, 0xbf3f9e67, v60
	v_mul_f32_e32 v140, 0xbf3f9e67, v67
	v_add_f32_e32 v138, v138, v142
	v_mul_f32_e32 v142, 0x3f7e222b, v71
	v_add_f32_e32 v137, v137, v141
	v_add_f32_e32 v139, v139, v143
	v_mov_b32_e32 v141, v140
	v_fmac_f32_e32 v140, 0x3f29c268, v68
	v_mov_b32_e32 v143, v142
	v_fma_f32 v142, v60, s4, -v142
	v_mul_f32_e32 v71, 0x3eedf032, v71
	v_fmac_f32_e32 v141, 0xbf29c268, v68
	v_add_f32_e32 v140, v140, v144
	v_fmac_f32_e32 v143, 0x3df6dbef, v60
	v_mul_f32_e32 v144, 0x3df6dbef, v67
	v_add_f32_e32 v142, v142, v146
	v_mov_b32_e32 v146, v71
	v_mul_f32_e32 v67, 0x3f62ad3f, v67
	v_add_f32_e32 v141, v141, v145
	v_add_f32_e32 v143, v143, v147
	v_mov_b32_e32 v145, v144
	v_fmac_f32_e32 v146, 0x3f62ad3f, v60
	v_mov_b32_e32 v147, v67
	v_fma_f32 v60, v60, s6, -v71
	v_sub_f32_e32 v71, v74, v129
	v_fmac_f32_e32 v145, 0xbf7e222b, v68
	v_fmac_f32_e32 v144, 0x3f7e222b, v68
	;; [unrolled: 1-line block ×3, first 2 shown]
	v_add_f32_e32 v25, v60, v25
	v_fmac_f32_e32 v67, 0x3eedf032, v68
	v_add_f32_e32 v60, v128, v73
	v_sub_f32_e32 v68, v73, v128
	v_mul_f32_e32 v73, 0xbf7e222b, v71
	v_add_f32_e32 v24, v67, v24
	v_add_f32_e32 v67, v129, v74
	v_mov_b32_e32 v74, v73
	v_fmac_f32_e32 v74, 0x3df6dbef, v60
	v_add_f32_e32 v70, v74, v70
	v_mul_f32_e32 v74, 0x3df6dbef, v67
	v_mov_b32_e32 v128, v74
	v_fma_f32 v73, v60, s4, -v73
	v_fmac_f32_e32 v128, 0x3f7e222b, v68
	v_add_f32_e32 v69, v73, v69
	v_fmac_f32_e32 v74, 0xbf7e222b, v68
	v_mul_f32_e32 v73, 0xbe750f2a, v71
	v_mul_f32_e32 v129, 0xbf788fa5, v67
	v_add_f32_e32 v128, v128, v130
	v_add_f32_e32 v72, v74, v72
	v_mov_b32_e32 v74, v73
	v_mov_b32_e32 v130, v129
	v_fma_f32 v73, v60, s13, -v73
	v_fmac_f32_e32 v129, 0xbe750f2a, v68
	v_fmac_f32_e32 v74, 0xbf788fa5, v60
	v_add_f32_e32 v73, v73, v83
	v_add_f32_e32 v83, v129, v132
	v_mul_f32_e32 v129, 0x3f6f5d39, v71
	v_add_f32_e32 v74, v74, v131
	v_mov_b32_e32 v131, v129
	v_fma_f32 v129, v60, s7, -v129
	v_fmac_f32_e32 v130, 0x3e750f2a, v68
	v_fmac_f32_e32 v131, 0xbeb58ec6, v60
	v_mul_f32_e32 v132, 0xbeb58ec6, v67
	v_add_f32_e32 v129, v129, v134
	v_mul_f32_e32 v134, 0x3eedf032, v71
	v_add_f32_e32 v130, v130, v133
	v_add_f32_e32 v131, v131, v135
	v_mov_b32_e32 v133, v132
	v_fmac_f32_e32 v132, 0x3f6f5d39, v68
	v_mov_b32_e32 v135, v134
	v_fma_f32 v134, v60, s6, -v134
	v_fmac_f32_e32 v133, 0xbf6f5d39, v68
	v_add_f32_e32 v132, v132, v136
	v_fmac_f32_e32 v135, 0x3f62ad3f, v60
	v_mul_f32_e32 v136, 0x3f62ad3f, v67
	v_add_f32_e32 v134, v134, v138
	v_mul_f32_e32 v138, 0xbf52af12, v71
	v_add_f32_e32 v133, v133, v137
	v_add_f32_e32 v135, v135, v139
	v_mov_b32_e32 v137, v136
	v_fmac_f32_e32 v136, 0x3eedf032, v68
	v_mov_b32_e32 v139, v138
	v_fma_f32 v138, v60, s5, -v138
	v_mul_f32_e32 v71, 0xbf29c268, v71
	v_fmac_f32_e32 v137, 0xbeedf032, v68
	v_add_f32_e32 v136, v136, v140
	v_fmac_f32_e32 v139, 0x3f116cb1, v60
	v_mul_f32_e32 v140, 0x3f116cb1, v67
	v_add_f32_e32 v138, v138, v142
	v_mov_b32_e32 v142, v71
	v_mul_f32_e32 v67, 0xbf3f9e67, v67
	v_add_f32_e32 v137, v137, v141
	v_add_f32_e32 v139, v139, v143
	v_mov_b32_e32 v141, v140
	v_fmac_f32_e32 v142, 0xbf3f9e67, v60
	v_mov_b32_e32 v143, v67
	v_fma_f32 v60, v60, s12, -v71
	v_sub_f32_e32 v71, v76, v127
	v_fmac_f32_e32 v141, 0x3f52af12, v68
	v_fmac_f32_e32 v140, 0xbf52af12, v68
	;; [unrolled: 1-line block ×3, first 2 shown]
	v_add_f32_e32 v25, v60, v25
	v_fmac_f32_e32 v67, 0xbf29c268, v68
	v_add_f32_e32 v60, v126, v75
	v_sub_f32_e32 v68, v75, v126
	v_mul_f32_e32 v75, 0xbf6f5d39, v71
	v_add_f32_e32 v24, v67, v24
	v_add_f32_e32 v67, v127, v76
	v_mov_b32_e32 v76, v75
	v_fmac_f32_e32 v76, 0xbeb58ec6, v60
	v_add_f32_e32 v70, v76, v70
	v_mul_f32_e32 v76, 0xbeb58ec6, v67
	v_fma_f32 v75, v60, s7, -v75
	v_mov_b32_e32 v126, v76
	v_add_f32_e32 v69, v75, v69
	v_fmac_f32_e32 v76, 0xbf6f5d39, v68
	v_mul_f32_e32 v75, 0x3f29c268, v71
	v_add_f32_e32 v72, v76, v72
	v_mov_b32_e32 v76, v75
	v_fmac_f32_e32 v76, 0xbf3f9e67, v60
	v_add_f32_e32 v74, v76, v74
	v_mul_f32_e32 v76, 0xbf3f9e67, v67
	v_mov_b32_e32 v127, v76
	v_fma_f32 v75, v60, s12, -v75
	v_fmac_f32_e32 v76, 0x3f29c268, v68
	v_add_f32_e32 v73, v75, v73
	v_add_f32_e32 v75, v76, v83
	v_mul_f32_e32 v76, 0x3eedf032, v71
	v_fmac_f32_e32 v126, 0x3f6f5d39, v68
	v_mov_b32_e32 v83, v76
	v_fma_f32 v76, v60, s6, -v76
	v_add_f32_e32 v126, v126, v128
	v_fmac_f32_e32 v127, 0xbf29c268, v68
	v_fmac_f32_e32 v83, 0x3f62ad3f, v60
	v_mul_f32_e32 v128, 0x3f62ad3f, v67
	v_add_f32_e32 v76, v76, v129
	v_mul_f32_e32 v129, 0xbf7e222b, v71
	v_add_f32_e32 v127, v127, v130
	v_add_f32_e32 v83, v83, v131
	v_mov_b32_e32 v130, v128
	v_fmac_f32_e32 v128, 0x3eedf032, v68
	v_mov_b32_e32 v131, v129
	v_fma_f32 v129, v60, s4, -v129
	v_fmac_f32_e32 v130, 0xbeedf032, v68
	v_add_f32_e32 v128, v128, v132
	v_fmac_f32_e32 v131, 0x3df6dbef, v60
	v_mul_f32_e32 v132, 0x3df6dbef, v67
	v_add_f32_e32 v129, v129, v134
	v_mul_f32_e32 v134, 0x3e750f2a, v71
	v_add_f32_e32 v130, v130, v133
	v_add_f32_e32 v131, v131, v135
	v_mov_b32_e32 v133, v132
	v_fmac_f32_e32 v132, 0xbf7e222b, v68
	v_mov_b32_e32 v135, v134
	v_fma_f32 v134, v60, s13, -v134
	v_mul_f32_e32 v71, 0x3f52af12, v71
	v_fmac_f32_e32 v133, 0x3f7e222b, v68
	v_add_f32_e32 v132, v132, v136
	v_fmac_f32_e32 v135, 0xbf788fa5, v60
	v_mul_f32_e32 v136, 0xbf788fa5, v67
	v_add_f32_e32 v134, v134, v138
	v_mov_b32_e32 v138, v71
	v_mul_f32_e32 v67, 0x3f116cb1, v67
	v_add_f32_e32 v133, v133, v137
	v_add_f32_e32 v135, v135, v139
	v_mov_b32_e32 v137, v136
	v_fmac_f32_e32 v138, 0x3f116cb1, v60
	v_mov_b32_e32 v139, v67
	v_fma_f32 v60, v60, s5, -v71
	v_sub_f32_e32 v71, v78, v125
	v_fmac_f32_e32 v137, 0xbe750f2a, v68
	v_fmac_f32_e32 v136, 0x3e750f2a, v68
	;; [unrolled: 1-line block ×3, first 2 shown]
	v_add_f32_e32 v25, v60, v25
	v_fmac_f32_e32 v67, 0x3f52af12, v68
	v_add_f32_e32 v60, v124, v77
	v_sub_f32_e32 v68, v77, v124
	v_mul_f32_e32 v77, 0xbf29c268, v71
	v_add_f32_e32 v24, v67, v24
	v_add_f32_e32 v67, v125, v78
	v_mov_b32_e32 v78, v77
	v_fmac_f32_e32 v78, 0xbf3f9e67, v60
	v_add_f32_e32 v70, v78, v70
	v_mul_f32_e32 v78, 0xbf3f9e67, v67
	v_fma_f32 v77, v60, s12, -v77
	v_mov_b32_e32 v124, v78
	v_add_f32_e32 v69, v77, v69
	v_fmac_f32_e32 v78, 0xbf29c268, v68
	v_mul_f32_e32 v77, 0x3f7e222b, v71
	v_add_f32_e32 v72, v78, v72
	v_mov_b32_e32 v78, v77
	v_fmac_f32_e32 v78, 0x3df6dbef, v60
	v_add_f32_e32 v74, v78, v74
	v_mul_f32_e32 v78, 0x3df6dbef, v67
	v_fma_f32 v77, v60, s4, -v77
	v_mov_b32_e32 v125, v78
	v_add_f32_e32 v73, v77, v73
	v_fmac_f32_e32 v78, 0x3f7e222b, v68
	v_mul_f32_e32 v77, 0xbf52af12, v71
	v_add_f32_e32 v75, v78, v75
	v_mov_b32_e32 v78, v77
	v_fmac_f32_e32 v78, 0x3f116cb1, v60
	v_fmac_f32_e32 v124, 0x3f29c268, v68
	v_add_f32_e32 v78, v78, v83
	v_mul_f32_e32 v83, 0x3f116cb1, v67
	v_add_f32_e32 v124, v124, v126
	v_mov_b32_e32 v126, v83
	v_fma_f32 v77, v60, s5, -v77
	v_fmac_f32_e32 v83, 0xbf52af12, v68
	v_fmac_f32_e32 v125, 0xbf7e222b, v68
	v_add_f32_e32 v76, v77, v76
	v_add_f32_e32 v77, v83, v128
	v_mul_f32_e32 v83, 0x3e750f2a, v71
	v_add_f32_e32 v125, v125, v127
	v_mov_b32_e32 v127, v83
	v_fma_f32 v83, v60, s13, -v83
	v_fmac_f32_e32 v126, 0x3f52af12, v68
	v_fmac_f32_e32 v127, 0xbf788fa5, v60
	v_mul_f32_e32 v128, 0xbf788fa5, v67
	v_add_f32_e32 v83, v83, v129
	v_mul_f32_e32 v129, 0x3eedf032, v71
	v_add_f32_e32 v144, v144, v148
	v_add_f32_e32 v126, v126, v130
	;; [unrolled: 1-line block ×3, first 2 shown]
	v_mov_b32_e32 v130, v128
	v_fmac_f32_e32 v128, 0x3e750f2a, v68
	v_mov_b32_e32 v131, v129
	v_add_f32_e32 v145, v145, v149
	v_add_f32_e32 v140, v140, v144
	v_fmac_f32_e32 v130, 0xbe750f2a, v68
	v_add_f32_e32 v128, v128, v132
	v_fmac_f32_e32 v131, 0x3f62ad3f, v60
	v_mul_f32_e32 v132, 0x3f62ad3f, v67
	v_fma_f32 v129, v60, s6, -v129
	v_mul_f32_e32 v71, 0xbf6f5d39, v71
	v_mul_f32_e32 v67, 0xbeb58ec6, v67
	v_add_f32_e32 v146, v146, v150
	v_add_f32_e32 v141, v141, v145
	;; [unrolled: 1-line block ×5, first 2 shown]
	v_mov_b32_e32 v133, v132
	v_add_f32_e32 v129, v129, v134
	v_fmac_f32_e32 v132, 0x3eedf032, v68
	v_mov_b32_e32 v134, v71
	v_mov_b32_e32 v135, v67
	v_fmac_f32_e32 v67, 0xbf6f5d39, v68
	v_sub_f32_e32 v140, v80, v82
	v_add_f32_e32 v147, v147, v151
	v_add_f32_e32 v142, v142, v146
	;; [unrolled: 1-line block ×3, first 2 shown]
	v_fmac_f32_e32 v133, 0xbeedf032, v68
	v_add_f32_e32 v132, v132, v136
	v_fmac_f32_e32 v134, 0xbeb58ec6, v60
	v_fma_f32 v60, v60, s7, -v71
	v_add_f32_e32 v136, v67, v24
	v_mul_f32_e32 v24, 0xbe750f2a, v140
	v_add_f32_e32 v143, v143, v147
	v_add_f32_e32 v138, v138, v142
	;; [unrolled: 1-line block ×5, first 2 shown]
	v_mov_b32_e32 v25, v24
	v_add_f32_e32 v139, v139, v143
	v_add_f32_e32 v134, v134, v138
	v_fmac_f32_e32 v135, 0x3f6f5d39, v68
	v_add_f32_e32 v138, v82, v80
	v_fmac_f32_e32 v25, 0xbf788fa5, v137
	v_add_f32_e32 v135, v135, v139
	v_sub_f32_e32 v139, v79, v81
	v_add_f32_e32 v67, v25, v70
	v_mul_f32_e32 v25, 0xbf788fa5, v138
	v_mov_b32_e32 v68, v25
	v_fmac_f32_e32 v25, 0xbe750f2a, v139
	v_add_f32_e32 v25, v25, v72
	v_mul_f32_e32 v72, 0x3f62ad3f, v138
	v_fma_f32 v24, v137, s13, -v24
	v_mul_f32_e32 v71, 0x3eedf032, v140
	v_mov_b32_e32 v70, v72
	v_fmac_f32_e32 v72, 0x3eedf032, v139
	v_add_f32_e32 v24, v24, v69
	v_mov_b32_e32 v69, v71
	v_fma_f32 v71, v137, s6, -v71
	v_add_f32_e32 v72, v72, v75
	v_mul_f32_e32 v75, 0xbf29c268, v140
	v_add_f32_e32 v71, v71, v73
	v_mov_b32_e32 v73, v75
	v_fmac_f32_e32 v73, 0xbf3f9e67, v137
	v_fmac_f32_e32 v69, 0x3f62ad3f, v137
	v_add_f32_e32 v73, v73, v78
	v_mul_f32_e32 v78, 0xbf3f9e67, v138
	v_add_f32_e32 v69, v69, v74
	v_mov_b32_e32 v74, v78
	v_fma_f32 v75, v137, s12, -v75
	v_fmac_f32_e32 v78, 0xbf29c268, v139
	v_mul_f32_e32 v79, 0x3f52af12, v140
	v_add_f32_e32 v75, v75, v76
	v_add_f32_e32 v76, v78, v77
	v_mov_b32_e32 v77, v79
	v_fma_f32 v79, v137, s5, -v79
	v_fmac_f32_e32 v70, 0xbeedf032, v139
	v_add_f32_e32 v79, v79, v83
	v_mul_f32_e32 v83, 0xbf6f5d39, v140
	v_fmac_f32_e32 v68, 0x3e750f2a, v139
	v_add_f32_e32 v70, v70, v125
	v_mul_f32_e32 v80, 0x3f116cb1, v138
	v_mov_b32_e32 v81, v83
	v_mul_f32_e32 v125, 0xbeb58ec6, v138
	v_fma_f32 v83, v137, s7, -v83
	v_add_f32_e32 v68, v68, v124
	v_fmac_f32_e32 v74, 0x3f29c268, v139
	v_fmac_f32_e32 v77, 0x3f116cb1, v137
	v_mov_b32_e32 v78, v80
	v_mov_b32_e32 v82, v125
	v_add_f32_e32 v124, v83, v129
	v_mul_f32_e32 v83, 0x3f7e222b, v140
	v_mul_f32_e32 v129, 0x3df6dbef, v138
	v_add_f32_e32 v74, v74, v126
	v_add_f32_e32 v77, v77, v127
	v_fmac_f32_e32 v78, 0xbf52af12, v139
	v_fmac_f32_e32 v80, 0x3f52af12, v139
	;; [unrolled: 1-line block ×4, first 2 shown]
	v_mov_b32_e32 v126, v83
	v_mov_b32_e32 v127, v129
	v_add_f32_e32 v78, v78, v130
	v_add_f32_e32 v80, v80, v128
	;; [unrolled: 1-line block ×4, first 2 shown]
	v_fmac_f32_e32 v125, 0xbf6f5d39, v139
	v_fmac_f32_e32 v126, 0x3df6dbef, v137
	;; [unrolled: 1-line block ×3, first 2 shown]
	v_fma_f32 v83, v137, s4, -v83
	v_fmac_f32_e32 v129, 0x3f7e222b, v139
	v_add_f32_e32 v125, v125, v132
	v_add_f32_e32 v126, v126, v134
	;; [unrolled: 1-line block ×5, first 2 shown]
	s_barrier
	ds_write2_b64 v61, v[62:63], v[67:68] offset1:1
	ds_write2_b64 v61, v[69:70], v[73:74] offset0:2 offset1:3
	ds_write2_b64 v61, v[77:78], v[81:82] offset0:4 offset1:5
	;; [unrolled: 1-line block ×5, first 2 shown]
	ds_write_b64 v61, v[24:25] offset:96
	s_waitcnt lgkmcnt(0)
	s_barrier
	ds_read2_b64 v[60:63], v117 offset1:78
	ds_read2_b64 v[80:83], v117 offset0:169 offset1:247
	ds_read2_b64 v[76:79], v66 offset0:82 offset1:160
	;; [unrolled: 1-line block ×5, first 2 shown]
	s_and_saveexec_b64 s[0:1], vcc
	s_cbranch_execz .LBB0_7
; %bb.6:
	v_add_u32_e32 v24, 0x400, v117
	v_add_u32_e32 v52, 0xe00, v117
	ds_read2_b64 v[24:27], v24 offset0:28 offset1:197
	ds_read2_b64 v[52:55], v52 offset0:46 offset1:215
	;; [unrolled: 1-line block ×3, first 2 shown]
.LBB0_7:
	s_or_b64 exec, exec, s[0:1]
	s_waitcnt lgkmcnt(4)
	v_mul_f32_e32 v123, v13, v81
	v_mul_f32_e32 v13, v13, v80
	v_fmac_f32_e32 v123, v12, v80
	v_fma_f32 v13, v12, v81, -v13
	s_waitcnt lgkmcnt(3)
	v_mul_f32_e32 v12, v15, v77
	v_mul_f32_e32 v15, v15, v76
	v_fmac_f32_e32 v12, v14, v76
	v_fma_f32 v14, v14, v77, -v15
	;; [unrolled: 5-line block ×4, first 2 shown]
	s_waitcnt lgkmcnt(0)
	v_mul_f32_e32 v11, v114, v65
	v_fmac_f32_e32 v11, v113, v64
	v_mul_f32_e32 v64, v114, v64
	v_fma_f32 v64, v113, v65, -v64
	v_mul_f32_e32 v65, v21, v83
	v_mul_f32_e32 v21, v21, v82
	v_fmac_f32_e32 v65, v20, v82
	v_fma_f32 v68, v20, v83, -v21
	v_mul_f32_e32 v20, v23, v79
	v_mul_f32_e32 v21, v23, v78
	v_fmac_f32_e32 v20, v22, v78
	v_fma_f32 v21, v22, v79, -v21
	v_mul_f32_e32 v22, v17, v75
	v_mul_f32_e32 v17, v17, v74
	v_fma_f32 v23, v16, v75, -v17
	v_add_f32_e32 v17, v12, v9
	v_fmac_f32_e32 v22, v16, v74
	v_mul_f32_e32 v69, v19, v71
	v_mul_f32_e32 v16, v19, v70
	v_fma_f32 v17, -0.5, v17, v60
	v_fmac_f32_e32 v69, v18, v70
	v_fma_f32 v70, v18, v71, -v16
	v_sub_f32_e32 v18, v14, v10
	v_mov_b32_e32 v19, v17
	v_mul_f32_e32 v71, v116, v67
	v_mul_f32_e32 v16, v116, v66
	v_fmac_f32_e32 v19, 0xbf5db3d7, v18
	v_fmac_f32_e32 v17, 0x3f5db3d7, v18
	v_add_f32_e32 v18, v61, v14
	v_fmac_f32_e32 v71, v115, v66
	v_fma_f32 v66, v115, v67, -v16
	v_add_f32_e32 v16, v60, v12
	v_add_f32_e32 v60, v18, v10
	;; [unrolled: 1-line block ×3, first 2 shown]
	v_fma_f32 v61, -0.5, v10, v61
	v_add_f32_e32 v16, v16, v9
	v_sub_f32_e32 v9, v12, v9
	v_mov_b32_e32 v67, v61
	v_fmac_f32_e32 v67, 0x3f5db3d7, v9
	v_fmac_f32_e32 v61, 0xbf5db3d7, v9
	v_add_f32_e32 v9, v123, v15
	v_add_f32_e32 v14, v9, v11
	;; [unrolled: 1-line block ×3, first 2 shown]
	v_fmac_f32_e32 v123, -0.5, v9
	v_sub_f32_e32 v9, v8, v64
	v_mov_b32_e32 v18, v123
	v_fmac_f32_e32 v18, 0xbf5db3d7, v9
	v_fmac_f32_e32 v123, 0x3f5db3d7, v9
	v_add_f32_e32 v9, v13, v8
	v_add_f32_e32 v8, v8, v64
	v_fmac_f32_e32 v13, -0.5, v8
	v_sub_f32_e32 v8, v15, v11
	v_mov_b32_e32 v11, v13
	v_fmac_f32_e32 v11, 0x3f5db3d7, v8
	v_fmac_f32_e32 v13, 0xbf5db3d7, v8
	v_mul_f32_e32 v15, 0xbf5db3d7, v11
	v_add_f32_e32 v72, v9, v64
	v_fmac_f32_e32 v15, 0.5, v18
	v_mul_f32_e32 v64, 0xbf5db3d7, v13
	v_add_f32_e32 v8, v16, v14
	v_add_f32_e32 v10, v19, v15
	v_fmac_f32_e32 v64, -0.5, v123
	v_add_f32_e32 v9, v60, v72
	v_mul_f32_e32 v73, 0.5, v11
	v_sub_f32_e32 v14, v16, v14
	v_sub_f32_e32 v16, v19, v15
	;; [unrolled: 1-line block ×3, first 2 shown]
	v_add_f32_e32 v60, v62, v20
	v_add_f32_e32 v12, v17, v64
	v_fmac_f32_e32 v73, 0x3f5db3d7, v18
	v_sub_f32_e32 v18, v17, v64
	v_add_f32_e32 v64, v60, v69
	v_add_f32_e32 v60, v20, v69
	v_fma_f32 v62, -0.5, v60, v62
	v_add_f32_e32 v11, v67, v73
	v_sub_f32_e32 v17, v67, v73
	v_sub_f32_e32 v60, v21, v70
	v_mov_b32_e32 v67, v62
	v_fmac_f32_e32 v67, 0xbf5db3d7, v60
	v_fmac_f32_e32 v62, 0x3f5db3d7, v60
	v_add_f32_e32 v60, v63, v21
	v_add_f32_e32 v21, v21, v70
	v_fmac_f32_e32 v63, -0.5, v21
	v_sub_f32_e32 v20, v20, v69
	v_mov_b32_e32 v69, v63
	v_fmac_f32_e32 v69, 0x3f5db3d7, v20
	v_fmac_f32_e32 v63, 0xbf5db3d7, v20
	v_add_f32_e32 v20, v65, v22
	v_mul_f32_e32 v74, -0.5, v13
	v_add_f32_e32 v72, v60, v70
	v_add_f32_e32 v70, v20, v71
	v_add_f32_e32 v20, v22, v71
	v_fmac_f32_e32 v74, 0x3f5db3d7, v123
	v_fmac_f32_e32 v65, -0.5, v20
	v_add_f32_e32 v13, v61, v74
	v_sub_f32_e32 v19, v61, v74
	v_sub_f32_e32 v20, v23, v66
	v_mov_b32_e32 v61, v65
	v_fmac_f32_e32 v61, 0xbf5db3d7, v20
	v_fmac_f32_e32 v65, 0x3f5db3d7, v20
	v_add_f32_e32 v20, v68, v23
	v_add_f32_e32 v73, v20, v66
	;; [unrolled: 1-line block ×3, first 2 shown]
	v_fmac_f32_e32 v68, -0.5, v20
	v_sub_f32_e32 v20, v22, v71
	v_mov_b32_e32 v23, v68
	v_fmac_f32_e32 v23, 0x3f5db3d7, v20
	v_fmac_f32_e32 v68, 0xbf5db3d7, v20
	v_mul_f32_e32 v66, 0xbf5db3d7, v23
	v_mul_f32_e32 v71, 0xbf5db3d7, v68
	v_mul_f32_e32 v74, 0.5, v23
	v_mul_f32_e32 v68, -0.5, v68
	v_fmac_f32_e32 v66, 0.5, v61
	v_fmac_f32_e32 v71, -0.5, v65
	v_fmac_f32_e32 v74, 0x3f5db3d7, v61
	v_fmac_f32_e32 v68, 0x3f5db3d7, v65
	v_add_f32_e32 v20, v64, v70
	v_add_f32_e32 v22, v67, v66
	;; [unrolled: 1-line block ×6, first 2 shown]
	v_sub_f32_e32 v64, v64, v70
	v_sub_f32_e32 v66, v67, v66
	;; [unrolled: 1-line block ×6, first 2 shown]
	s_barrier
	ds_write2_b64 v121, v[8:9], v[10:11] offset1:13
	ds_write2_b64 v121, v[12:13], v[14:15] offset0:26 offset1:39
	ds_write2_b64 v121, v[16:17], v[18:19] offset0:52 offset1:65
	ds_write2_b64 v122, v[20:21], v[22:23] offset1:13
	ds_write2_b64 v122, v[60:61], v[64:65] offset0:26 offset1:39
	ds_write2_b64 v122, v[66:67], v[62:63] offset0:52 offset1:65
	s_and_saveexec_b64 s[0:1], vcc
	s_cbranch_execz .LBB0_9
; %bb.8:
	v_mul_f32_e32 v13, v5, v55
	v_mul_f32_e32 v14, v112, v59
	;; [unrolled: 1-line block ×3, first 2 shown]
	v_fmac_f32_e32 v13, v4, v54
	v_fmac_f32_e32 v14, v111, v58
	v_mul_f32_e32 v8, v3, v52
	v_mul_f32_e32 v11, v3, v53
	v_fmac_f32_e32 v12, v0, v26
	v_add_f32_e32 v3, v13, v14
	v_fma_f32 v15, -0.5, v3, v12
	v_mul_f32_e32 v3, v5, v54
	v_fma_f32 v4, v4, v55, -v3
	v_mul_f32_e32 v3, v112, v58
	v_fma_f32 v5, v111, v59, -v3
	;; [unrolled: 2-line block ×3, first 2 shown]
	v_add_f32_e32 v1, v4, v5
	v_fma_f32 v17, -0.5, v1, v0
	v_mul_f32_e32 v9, v7, v56
	v_sub_f32_e32 v18, v13, v14
	v_mov_b32_e32 v19, v17
	v_fma_f32 v8, v2, v53, -v8
	v_fma_f32 v9, v6, v57, -v9
	v_sub_f32_e32 v3, v4, v5
	v_mov_b32_e32 v16, v15
	v_fmac_f32_e32 v19, 0xbf5db3d7, v18
	v_add_f32_e32 v10, v8, v9
	v_fmac_f32_e32 v11, v2, v52
	v_mul_f32_e32 v7, v7, v57
	v_fmac_f32_e32 v16, 0x3f5db3d7, v3
	v_mul_f32_e32 v20, -0.5, v19
	v_fmac_f32_e32 v17, 0x3f5db3d7, v18
	v_mul_f32_e32 v19, 0xbf5db3d7, v19
	v_fma_f32 v10, -0.5, v10, v25
	v_fmac_f32_e32 v7, v6, v56
	v_fmac_f32_e32 v20, 0x3f5db3d7, v16
	;; [unrolled: 1-line block ×3, first 2 shown]
	v_mul_f32_e32 v18, 0.5, v17
	v_add_f32_e32 v0, v0, v4
	v_fmac_f32_e32 v19, -0.5, v16
	v_mul_f32_e32 v16, 0xbf5db3d7, v17
	v_add_f32_e32 v4, v24, v11
	v_sub_f32_e32 v2, v11, v7
	v_mov_b32_e32 v6, v10
	v_fmac_f32_e32 v18, 0x3f5db3d7, v15
	v_add_f32_e32 v22, v0, v5
	v_add_f32_e32 v0, v11, v7
	v_fmac_f32_e32 v16, 0.5, v15
	v_add_f32_e32 v15, v4, v7
	v_add_f32_e32 v4, v12, v13
	v_fmac_f32_e32 v6, 0xbf5db3d7, v2
	v_fmac_f32_e32 v10, 0x3f5db3d7, v2
	v_add_f32_e32 v2, v25, v8
	v_fma_f32 v23, -0.5, v0, v24
	v_add_f32_e32 v12, v4, v14
	v_sub_f32_e32 v3, v10, v18
	v_add_f32_e32 v21, v2, v9
	v_sub_f32_e32 v2, v8, v9
	v_mov_b32_e32 v8, v23
	v_sub_f32_e32 v4, v15, v12
	v_add_f32_e32 v9, v10, v18
	v_add_f32_e32 v10, v15, v12
	v_and_b32_e32 v12, 0xff, v120
	v_fmac_f32_e32 v8, 0x3f5db3d7, v2
	v_fmac_f32_e32 v23, 0xbf5db3d7, v2
	v_lshl_add_u32 v12, v12, 3, v119
	v_sub_f32_e32 v1, v6, v20
	v_sub_f32_e32 v0, v8, v19
	v_add_f32_e32 v7, v6, v20
	v_add_f32_e32 v11, v21, v22
	;; [unrolled: 1-line block ×4, first 2 shown]
	v_add_u32_e32 v12, 0x1800, v12
	v_sub_f32_e32 v5, v21, v22
	v_sub_f32_e32 v2, v23, v16
	ds_write2_b64 v12, v[10:11], v[8:9] offset0:168 offset1:181
	ds_write2_b64 v12, v[6:7], v[4:5] offset0:194 offset1:207
	;; [unrolled: 1-line block ×3, first 2 shown]
.LBB0_9:
	s_or_b64 exec, exec, s[0:1]
	s_waitcnt lgkmcnt(0)
	s_barrier
	ds_read2_b64 v[6:9], v117 offset1:78
	ds_read2_b64 v[10:13], v117 offset0:156 offset1:234
	v_add_u32_e32 v5, 0x800, v117
	ds_read2_b64 v[14:17], v5 offset0:56 offset1:134
	v_add_u32_e32 v4, 0xc00, v117
	s_waitcnt lgkmcnt(2)
	v_mul_f32_e32 v56, v45, v9
	ds_read2_b64 v[18:21], v4 offset0:84 offset1:162
	v_fmac_f32_e32 v56, v44, v8
	v_mul_f32_e32 v8, v45, v8
	v_add_u32_e32 v3, 0x1000, v117
	v_fma_f32 v44, v44, v9, -v8
	s_waitcnt lgkmcnt(2)
	v_mul_f32_e32 v45, v47, v11
	v_mul_f32_e32 v8, v47, v10
	ds_read2_b64 v[22:25], v3 offset0:112 offset1:190
	v_fmac_f32_e32 v45, v46, v10
	v_fma_f32 v10, v46, v11, -v8
	v_mul_f32_e32 v11, v37, v13
	v_mul_f32_e32 v8, v37, v12
	v_fmac_f32_e32 v11, v36, v12
	v_fma_f32 v12, v36, v13, -v8
	s_waitcnt lgkmcnt(2)
	v_mul_f32_e32 v13, v39, v15
	v_mul_f32_e32 v8, v39, v14
	v_add_u32_e32 v2, 0x1800, v117
	v_fmac_f32_e32 v13, v38, v14
	v_fma_f32 v14, v38, v15, -v8
	v_mul_f32_e32 v15, v33, v17
	v_mul_f32_e32 v8, v33, v16
	ds_read2_b64 v[52:55], v2 offset0:12 offset1:90
	ds_read_b64 v[26:27], v117 offset:7488
	v_fmac_f32_e32 v15, v32, v16
	v_fma_f32 v16, v32, v17, -v8
	s_waitcnt lgkmcnt(3)
	v_mul_f32_e32 v17, v35, v19
	v_mul_f32_e32 v8, v35, v18
	v_fmac_f32_e32 v17, v34, v18
	v_fma_f32 v18, v34, v19, -v8
	v_mul_f32_e32 v19, v29, v21
	v_mul_f32_e32 v8, v29, v20
	v_fmac_f32_e32 v19, v28, v20
	v_fma_f32 v20, v28, v21, -v8
	s_waitcnt lgkmcnt(2)
	v_mul_f32_e32 v21, v31, v23
	v_mul_f32_e32 v8, v31, v22
	v_fmac_f32_e32 v21, v30, v22
	v_fma_f32 v22, v30, v23, -v8
	v_mul_f32_e32 v23, v49, v25
	v_mul_f32_e32 v8, v49, v24
	v_fmac_f32_e32 v23, v48, v24
	v_fma_f32 v24, v48, v25, -v8
	s_waitcnt lgkmcnt(1)
	v_mul_f32_e32 v8, v51, v52
	v_add_f32_e32 v9, v7, v44
	v_fma_f32 v28, v50, v53, -v8
	v_mul_f32_e32 v8, v41, v54
	v_add_f32_e32 v9, v9, v10
	v_fma_f32 v30, v40, v55, -v8
	s_waitcnt lgkmcnt(0)
	v_mul_f32_e32 v31, v43, v27
	v_mul_f32_e32 v8, v43, v26
	v_add_f32_e32 v9, v9, v12
	v_fmac_f32_e32 v31, v42, v26
	v_fma_f32 v26, v42, v27, -v8
	v_add_f32_e32 v8, v6, v56
	v_add_f32_e32 v9, v9, v14
	;; [unrolled: 1-line block ×14, first 2 shown]
	v_mul_f32_e32 v25, v51, v53
	v_add_f32_e32 v8, v8, v21
	v_add_f32_e32 v9, v9, v30
	v_fmac_f32_e32 v25, v50, v52
	v_mul_f32_e32 v29, v41, v55
	v_add_f32_e32 v8, v8, v23
	v_add_f32_e32 v9, v9, v26
	;; [unrolled: 1-line block ×3, first 2 shown]
	v_sub_f32_e32 v26, v44, v26
	v_mad_u64_u32 v[0:1], s[0:1], s10, v94, 0
	v_fmac_f32_e32 v29, v40, v54
	v_add_f32_e32 v8, v8, v25
	v_mul_f32_e32 v33, 0xbeedf032, v26
	v_mul_f32_e32 v37, 0xbf52af12, v26
	;; [unrolled: 1-line block ×6, first 2 shown]
	v_add_f32_e32 v8, v8, v29
	v_add_f32_e32 v27, v56, v31
	s_mov_b32 s4, 0x3f62ad3f
	v_mul_f32_e32 v35, 0x3f62ad3f, v32
	s_mov_b32 s1, 0x3f116cb1
	v_mul_f32_e32 v39, 0x3f116cb1, v32
	;; [unrolled: 2-line block ×5, first 2 shown]
	s_mov_b32 s7, 0xbf788fa5
	v_mov_b32_e32 v54, v26
	v_mul_f32_e32 v32, 0xbf788fa5, v32
	v_add_f32_e32 v8, v8, v31
	v_sub_f32_e32 v31, v56, v31
	v_fma_f32 v34, v27, s4, -v33
	v_fmac_f32_e32 v33, 0x3f62ad3f, v27
	v_mov_b32_e32 v36, v35
	v_fma_f32 v38, v27, s1, -v37
	v_fmac_f32_e32 v37, 0x3f116cb1, v27
	v_mov_b32_e32 v40, v39
	v_fma_f32 v42, v27, s0, -v41
	v_fmac_f32_e32 v41, 0x3df6dbef, v27
	v_mov_b32_e32 v44, v43
	v_fma_f32 v47, v27, s5, -v46
	v_fmac_f32_e32 v46, 0xbeb58ec6, v27
	v_mov_b32_e32 v49, v48
	v_fma_f32 v51, v27, s6, -v50
	v_fmac_f32_e32 v50, 0xbf3f9e67, v27
	v_mov_b32_e32 v53, v52
	v_fmac_f32_e32 v54, 0xbf788fa5, v27
	v_mov_b32_e32 v55, v32
	v_fma_f32 v26, v27, s7, -v26
	v_add_f32_e32 v27, v10, v30
	v_sub_f32_e32 v10, v10, v30
	v_add_f32_e32 v33, v6, v33
	v_fmac_f32_e32 v36, 0x3eedf032, v31
	v_add_f32_e32 v34, v6, v34
	v_fmac_f32_e32 v35, 0xbeedf032, v31
	;; [unrolled: 2-line block ×12, first 2 shown]
	v_add_f32_e32 v26, v45, v29
	v_mul_f32_e32 v30, 0xbf52af12, v10
	v_add_f32_e32 v36, v7, v36
	v_add_f32_e32 v35, v7, v35
	v_add_f32_e32 v40, v7, v40
	v_add_f32_e32 v39, v7, v39
	v_add_f32_e32 v44, v7, v44
	v_add_f32_e32 v43, v7, v43
	v_add_f32_e32 v49, v7, v49
	v_add_f32_e32 v48, v7, v48
	v_add_f32_e32 v53, v7, v53
	v_add_f32_e32 v52, v7, v52
	v_add_f32_e32 v55, v7, v55
	v_add_f32_e32 v7, v7, v32
	v_fma_f32 v31, v26, s1, -v30
	v_fmac_f32_e32 v30, 0x3f116cb1, v26
	v_mul_f32_e32 v32, 0x3f116cb1, v27
	v_sub_f32_e32 v29, v45, v29
	v_add_f32_e32 v30, v30, v33
	v_mov_b32_e32 v33, v32
	v_fmac_f32_e32 v33, 0x3f52af12, v29
	v_add_f32_e32 v31, v31, v34
	v_fmac_f32_e32 v32, 0xbf52af12, v29
	v_mul_f32_e32 v34, 0xbf6f5d39, v10
	v_add_f32_e32 v33, v33, v36
	v_add_f32_e32 v32, v32, v35
	v_fma_f32 v35, v26, s5, -v34
	v_fmac_f32_e32 v34, 0xbeb58ec6, v26
	v_mul_f32_e32 v36, 0xbeb58ec6, v27
	v_add_f32_e32 v34, v34, v37
	v_mov_b32_e32 v37, v36
	v_fmac_f32_e32 v37, 0x3f6f5d39, v29
	v_add_f32_e32 v35, v35, v38
	v_fmac_f32_e32 v36, 0xbf6f5d39, v29
	v_mul_f32_e32 v38, 0xbe750f2a, v10
	v_add_f32_e32 v37, v37, v40
	v_add_f32_e32 v36, v36, v39
	v_fma_f32 v39, v26, s7, -v38
	v_fmac_f32_e32 v38, 0xbf788fa5, v26
	v_mul_f32_e32 v40, 0xbf788fa5, v27
	v_add_f32_e32 v38, v38, v41
	v_mov_b32_e32 v41, v40
	v_add_f32_e32 v39, v39, v42
	v_fmac_f32_e32 v40, 0xbe750f2a, v29
	v_mul_f32_e32 v42, 0x3f29c268, v10
	v_add_f32_e32 v40, v40, v43
	v_fma_f32 v43, v26, s6, -v42
	v_fmac_f32_e32 v42, 0xbf3f9e67, v26
	v_fmac_f32_e32 v41, 0x3e750f2a, v29
	v_add_f32_e32 v42, v42, v46
	v_mul_f32_e32 v46, 0x3f7e222b, v10
	v_add_f32_e32 v41, v41, v44
	v_mul_f32_e32 v44, 0xbf3f9e67, v27
	v_add_f32_e32 v43, v43, v47
	v_fma_f32 v47, v26, s0, -v46
	v_fmac_f32_e32 v46, 0x3df6dbef, v26
	v_mul_f32_e32 v10, 0x3eedf032, v10
	v_mov_b32_e32 v45, v44
	v_fmac_f32_e32 v44, 0x3f29c268, v29
	v_add_f32_e32 v46, v46, v50
	v_mov_b32_e32 v50, v10
	v_add_f32_e32 v44, v44, v48
	v_mul_f32_e32 v48, 0x3df6dbef, v27
	v_fmac_f32_e32 v50, 0x3f62ad3f, v26
	v_mul_f32_e32 v27, 0x3f62ad3f, v27
	v_fma_f32 v10, v26, s4, -v10
	v_add_f32_e32 v26, v12, v28
	v_sub_f32_e32 v12, v12, v28
	v_add_f32_e32 v47, v47, v51
	v_mov_b32_e32 v51, v27
	v_add_f32_e32 v6, v10, v6
	v_fmac_f32_e32 v27, 0x3eedf032, v29
	v_add_f32_e32 v10, v11, v25
	v_sub_f32_e32 v11, v11, v25
	v_mul_f32_e32 v25, 0xbf7e222b, v12
	v_add_f32_e32 v7, v27, v7
	v_fma_f32 v27, v10, s0, -v25
	v_fmac_f32_e32 v25, 0x3df6dbef, v10
	v_fmac_f32_e32 v45, 0xbf29c268, v29
	v_add_f32_e32 v25, v25, v30
	v_mul_f32_e32 v30, 0xbe750f2a, v12
	v_add_f32_e32 v45, v45, v49
	v_mov_b32_e32 v49, v48
	v_mul_f32_e32 v28, 0x3df6dbef, v26
	v_add_f32_e32 v27, v27, v31
	v_fma_f32 v31, v10, s7, -v30
	v_fmac_f32_e32 v30, 0xbf788fa5, v10
	v_fmac_f32_e32 v49, 0xbf7e222b, v29
	;; [unrolled: 1-line block ×4, first 2 shown]
	v_mov_b32_e32 v29, v28
	v_fmac_f32_e32 v28, 0xbf7e222b, v11
	v_add_f32_e32 v30, v30, v34
	v_mul_f32_e32 v34, 0x3f6f5d39, v12
	v_fmac_f32_e32 v29, 0x3f7e222b, v11
	v_add_f32_e32 v28, v28, v32
	v_mul_f32_e32 v32, 0xbf788fa5, v26
	v_add_f32_e32 v31, v31, v35
	v_fma_f32 v35, v10, s5, -v34
	v_fmac_f32_e32 v34, 0xbeb58ec6, v10
	v_add_f32_e32 v29, v29, v33
	v_mov_b32_e32 v33, v32
	v_fmac_f32_e32 v32, 0xbe750f2a, v11
	v_add_f32_e32 v34, v34, v38
	v_mul_f32_e32 v38, 0x3eedf032, v12
	v_fmac_f32_e32 v33, 0x3e750f2a, v11
	v_add_f32_e32 v32, v32, v36
	v_mul_f32_e32 v36, 0xbeb58ec6, v26
	v_add_f32_e32 v35, v35, v39
	v_fma_f32 v39, v10, s4, -v38
	v_fmac_f32_e32 v38, 0x3f62ad3f, v10
	v_add_f32_e32 v33, v33, v37
	v_mov_b32_e32 v37, v36
	v_fmac_f32_e32 v36, 0x3f6f5d39, v11
	v_add_f32_e32 v38, v38, v42
	v_mul_f32_e32 v42, 0xbf52af12, v12
	v_fmac_f32_e32 v37, 0xbf6f5d39, v11
	v_add_f32_e32 v36, v36, v40
	v_mul_f32_e32 v40, 0x3f62ad3f, v26
	v_add_f32_e32 v39, v39, v43
	v_fma_f32 v43, v10, s1, -v42
	v_fmac_f32_e32 v42, 0x3f116cb1, v10
	v_mul_f32_e32 v12, 0xbf29c268, v12
	v_add_f32_e32 v37, v37, v41
	v_mov_b32_e32 v41, v40
	v_fmac_f32_e32 v40, 0x3eedf032, v11
	v_add_f32_e32 v42, v42, v46
	v_mov_b32_e32 v46, v12
	v_fmac_f32_e32 v41, 0xbeedf032, v11
	v_add_f32_e32 v40, v40, v44
	v_mul_f32_e32 v44, 0x3f116cb1, v26
	v_fmac_f32_e32 v46, 0xbf3f9e67, v10
	v_mul_f32_e32 v26, 0xbf3f9e67, v26
	v_fma_f32 v10, v10, s6, -v12
	v_add_f32_e32 v41, v41, v45
	v_mov_b32_e32 v45, v44
	v_add_f32_e32 v43, v43, v47
	v_mov_b32_e32 v47, v26
	v_add_f32_e32 v6, v10, v6
	v_add_f32_e32 v10, v13, v23
	v_sub_f32_e32 v12, v13, v23
	v_sub_f32_e32 v13, v14, v24
	v_fmac_f32_e32 v45, 0x3f52af12, v11
	v_fmac_f32_e32 v44, 0xbf52af12, v11
	;; [unrolled: 1-line block ×4, first 2 shown]
	v_add_f32_e32 v11, v14, v24
	v_mul_f32_e32 v14, 0xbf6f5d39, v13
	v_add_f32_e32 v7, v26, v7
	v_fma_f32 v23, v10, s5, -v14
	v_fmac_f32_e32 v14, 0xbeb58ec6, v10
	v_mul_f32_e32 v24, 0xbeb58ec6, v11
	v_mul_f32_e32 v26, 0x3f29c268, v13
	v_add_f32_e32 v14, v14, v25
	v_mov_b32_e32 v25, v24
	v_add_f32_e32 v23, v23, v27
	v_fmac_f32_e32 v24, 0xbf6f5d39, v12
	v_fma_f32 v27, v10, s6, -v26
	v_fmac_f32_e32 v26, 0xbf3f9e67, v10
	v_fmac_f32_e32 v25, 0x3f6f5d39, v12
	v_add_f32_e32 v24, v24, v28
	v_add_f32_e32 v26, v26, v30
	v_mul_f32_e32 v28, 0xbf3f9e67, v11
	v_mul_f32_e32 v30, 0x3eedf032, v13
	v_add_f32_e32 v25, v25, v29
	v_mov_b32_e32 v29, v28
	v_add_f32_e32 v27, v27, v31
	v_fmac_f32_e32 v28, 0x3f29c268, v12
	v_fma_f32 v31, v10, s4, -v30
	v_fmac_f32_e32 v30, 0x3f62ad3f, v10
	v_fmac_f32_e32 v29, 0xbf29c268, v12
	v_add_f32_e32 v28, v28, v32
	v_add_f32_e32 v30, v30, v34
	;; [unrolled: 11-line block ×3, first 2 shown]
	v_mul_f32_e32 v36, 0x3df6dbef, v11
	v_mul_f32_e32 v38, 0x3e750f2a, v13
	v_add_f32_e32 v33, v33, v37
	v_mov_b32_e32 v37, v36
	v_add_f32_e32 v35, v35, v39
	v_fmac_f32_e32 v36, 0xbf7e222b, v12
	v_fma_f32 v39, v10, s7, -v38
	v_fmac_f32_e32 v38, 0xbf788fa5, v10
	v_mul_f32_e32 v13, 0x3f52af12, v13
	v_fmac_f32_e32 v37, 0x3f7e222b, v12
	v_add_f32_e32 v36, v36, v40
	v_add_f32_e32 v38, v38, v42
	v_mul_f32_e32 v40, 0xbf788fa5, v11
	v_mov_b32_e32 v42, v13
	v_mul_f32_e32 v11, 0x3f116cb1, v11
	v_add_f32_e32 v37, v37, v41
	v_mov_b32_e32 v41, v40
	v_add_f32_e32 v39, v39, v43
	v_fmac_f32_e32 v42, 0x3f116cb1, v10
	v_mov_b32_e32 v43, v11
	v_fma_f32 v10, v10, s1, -v13
	v_sub_f32_e32 v13, v16, v22
	v_fmac_f32_e32 v41, 0xbe750f2a, v12
	v_fmac_f32_e32 v40, 0x3e750f2a, v12
	;; [unrolled: 1-line block ×3, first 2 shown]
	v_add_f32_e32 v6, v10, v6
	v_fmac_f32_e32 v11, 0x3f52af12, v12
	v_add_f32_e32 v10, v15, v21
	v_sub_f32_e32 v12, v15, v21
	v_mul_f32_e32 v15, 0xbf29c268, v13
	v_add_f32_e32 v7, v11, v7
	v_add_f32_e32 v11, v16, v22
	v_fma_f32 v16, v10, s6, -v15
	v_fmac_f32_e32 v15, 0xbf3f9e67, v10
	v_add_f32_e32 v14, v15, v14
	v_mul_f32_e32 v15, 0xbf3f9e67, v11
	v_mov_b32_e32 v21, v15
	v_fmac_f32_e32 v15, 0xbf29c268, v12
	v_mul_f32_e32 v22, 0x3f7e222b, v13
	v_fmac_f32_e32 v21, 0x3f29c268, v12
	v_add_f32_e32 v16, v16, v23
	v_add_f32_e32 v15, v15, v24
	v_fma_f32 v23, v10, s0, -v22
	v_fmac_f32_e32 v22, 0x3df6dbef, v10
	v_mul_f32_e32 v24, 0x3df6dbef, v11
	v_add_f32_e32 v21, v21, v25
	v_add_f32_e32 v22, v22, v26
	v_mov_b32_e32 v25, v24
	v_fmac_f32_e32 v24, 0x3f7e222b, v12
	v_mul_f32_e32 v26, 0xbf52af12, v13
	v_fmac_f32_e32 v25, 0xbf7e222b, v12
	v_add_f32_e32 v23, v23, v27
	v_add_f32_e32 v24, v24, v28
	v_fma_f32 v27, v10, s1, -v26
	v_fmac_f32_e32 v26, 0x3f116cb1, v10
	v_mul_f32_e32 v28, 0x3f116cb1, v11
	v_add_f32_e32 v25, v25, v29
	v_add_f32_e32 v26, v26, v30
	v_mov_b32_e32 v29, v28
	v_fmac_f32_e32 v28, 0xbf52af12, v12
	v_mul_f32_e32 v30, 0x3e750f2a, v13
	v_fmac_f32_e32 v29, 0x3f52af12, v12
	v_add_f32_e32 v27, v27, v31
	v_add_f32_e32 v28, v28, v32
	v_fma_f32 v31, v10, s7, -v30
	v_fmac_f32_e32 v30, 0xbf788fa5, v10
	v_mul_f32_e32 v32, 0xbf788fa5, v11
	v_add_f32_e32 v29, v29, v33
	v_add_f32_e32 v30, v30, v34
	v_mov_b32_e32 v33, v32
	v_fmac_f32_e32 v32, 0x3e750f2a, v12
	v_mul_f32_e32 v34, 0x3eedf032, v13
	v_add_f32_e32 v51, v51, v55
	v_add_f32_e32 v31, v31, v35
	v_add_f32_e32 v32, v32, v36
	v_fma_f32 v35, v10, s4, -v34
	v_mul_f32_e32 v36, 0x3f62ad3f, v11
	v_mul_f32_e32 v11, 0xbeb58ec6, v11
	v_add_f32_e32 v49, v49, v53
	v_add_f32_e32 v48, v48, v52
	;; [unrolled: 1-line block ×4, first 2 shown]
	v_fmac_f32_e32 v33, 0xbe750f2a, v12
	v_fmac_f32_e32 v34, 0x3f62ad3f, v10
	v_add_f32_e32 v35, v35, v39
	v_mul_f32_e32 v13, 0xbf6f5d39, v13
	v_mov_b32_e32 v39, v11
	v_add_f32_e32 v45, v45, v49
	v_add_f32_e32 v44, v44, v48
	;; [unrolled: 1-line block ×6, first 2 shown]
	v_mov_b32_e32 v37, v36
	v_mov_b32_e32 v38, v13
	v_fmac_f32_e32 v39, 0x3f6f5d39, v12
	v_add_f32_e32 v41, v41, v45
	v_add_f32_e32 v40, v40, v44
	;; [unrolled: 1-line block ×3, first 2 shown]
	v_fmac_f32_e32 v37, 0xbeedf032, v12
	v_fmac_f32_e32 v36, 0x3eedf032, v12
	;; [unrolled: 1-line block ×3, first 2 shown]
	v_add_f32_e32 v39, v39, v43
	v_fma_f32 v10, v10, s5, -v13
	v_fmac_f32_e32 v11, 0xbf6f5d39, v12
	v_add_f32_e32 v43, v18, v20
	v_sub_f32_e32 v45, v18, v20
	v_add_f32_e32 v37, v37, v41
	v_add_f32_e32 v36, v36, v40
	;; [unrolled: 1-line block ×6, first 2 shown]
	v_sub_f32_e32 v44, v17, v19
	v_mul_f32_e32 v6, 0xbe750f2a, v45
	v_mul_f32_e32 v11, 0xbf788fa5, v43
	v_fma_f32 v10, v42, s7, -v6
	v_fmac_f32_e32 v6, 0xbf788fa5, v42
	v_mov_b32_e32 v7, v11
	v_fmac_f32_e32 v11, 0xbe750f2a, v44
	v_mul_f32_e32 v12, 0x3eedf032, v45
	v_add_f32_e32 v6, v6, v14
	v_add_f32_e32 v10, v10, v16
	;; [unrolled: 1-line block ×3, first 2 shown]
	v_fma_f32 v14, v42, s4, -v12
	v_fmac_f32_e32 v12, 0x3f62ad3f, v42
	v_mul_f32_e32 v15, 0x3f62ad3f, v43
	v_mul_f32_e32 v16, 0xbf29c268, v45
	;; [unrolled: 1-line block ×4, first 2 shown]
	v_add_f32_e32 v12, v12, v22
	v_mov_b32_e32 v13, v15
	v_fma_f32 v18, v42, s6, -v16
	v_mov_b32_e32 v17, v19
	v_fma_f32 v22, v42, s1, -v20
	v_fmac_f32_e32 v20, 0x3f116cb1, v42
	v_fmac_f32_e32 v7, 0x3e750f2a, v44
	;; [unrolled: 1-line block ×3, first 2 shown]
	v_add_f32_e32 v14, v14, v23
	v_fmac_f32_e32 v15, 0x3eedf032, v44
	v_fmac_f32_e32 v17, 0x3f29c268, v44
	v_add_f32_e32 v18, v18, v27
	v_fmac_f32_e32 v19, 0xbf29c268, v44
	v_add_f32_e32 v20, v20, v30
	v_mul_f32_e32 v23, 0x3f116cb1, v43
	v_add_f32_e32 v22, v22, v31
	v_mul_f32_e32 v27, 0xbeb58ec6, v43
	v_mul_f32_e32 v30, 0x3f7e222b, v45
	;; [unrolled: 1-line block ×3, first 2 shown]
	v_add_f32_e32 v7, v7, v21
	v_add_f32_e32 v13, v13, v25
	;; [unrolled: 1-line block ×3, first 2 shown]
	v_fmac_f32_e32 v16, 0xbf3f9e67, v42
	v_add_f32_e32 v17, v17, v29
	v_add_f32_e32 v19, v19, v28
	v_mov_b32_e32 v21, v23
	v_mul_f32_e32 v24, 0xbf6f5d39, v45
	v_mov_b32_e32 v25, v27
	v_mov_b32_e32 v28, v30
	v_mov_b32_e32 v29, v31
	v_add_f32_e32 v16, v16, v26
	v_fmac_f32_e32 v21, 0xbf52af12, v44
	v_fmac_f32_e32 v23, 0x3f52af12, v44
	v_fma_f32 v26, v42, s5, -v24
	v_fmac_f32_e32 v24, 0xbeb58ec6, v42
	v_fmac_f32_e32 v25, 0x3f6f5d39, v44
	;; [unrolled: 1-line block ×5, first 2 shown]
	v_fma_f32 v30, v42, s0, -v30
	v_fmac_f32_e32 v31, 0x3f7e222b, v44
	v_add_f32_e32 v21, v21, v33
	v_add_f32_e32 v23, v23, v32
	;; [unrolled: 1-line block ×10, first 2 shown]
	ds_write2_b64 v117, v[8:9], v[6:7] offset1:78
	ds_write2_b64 v117, v[12:13], v[16:17] offset0:156 offset1:234
	ds_write2_b64 v5, v[20:21], v[24:25] offset0:56 offset1:134
	;; [unrolled: 1-line block ×5, first 2 shown]
	ds_write_b64 v117, v[10:11] offset:7488
	s_waitcnt lgkmcnt(0)
	s_barrier
	ds_read2_b64 v[6:9], v117 offset1:78
	s_mov_b32 s0, 0xfc7729e9
	s_mov_b32 s1, 0x3f502864
	v_mad_u64_u32 v[12:13], s[4:5], s8, v118, 0
	s_waitcnt lgkmcnt(0)
	v_mul_f32_e32 v10, v110, v7
	v_fmac_f32_e32 v10, v109, v6
	v_mul_f32_e32 v6, v110, v6
	v_fma_f32 v6, v109, v7, -v6
	v_cvt_f64_f32_e32 v[10:11], v10
	v_cvt_f64_f32_e32 v[6:7], v6
	v_mad_u64_u32 v[14:15], s[4:5], s11, v94, v[1:2]
	v_mul_f64 v[10:11], v[10:11], s[0:1]
	v_mul_f64 v[6:7], v[6:7], s[0:1]
	v_mov_b32_e32 v1, v13
	v_mad_u64_u32 v[15:16], s[4:5], s9, v118, v[1:2]
	v_mov_b32_e32 v1, v14
	v_lshlrev_b64 v[0:1], 3, v[0:1]
	v_mov_b32_e32 v13, v15
	v_cvt_f32_f64_e32 v10, v[10:11]
	v_cvt_f32_f64_e32 v11, v[6:7]
	v_mul_f32_e32 v6, v108, v9
	v_fmac_f32_e32 v6, v107, v8
	v_cvt_f64_f32_e32 v[6:7], v6
	v_mul_f32_e32 v8, v108, v8
	v_fma_f32 v8, v107, v9, -v8
	v_mov_b32_e32 v14, s3
	v_cvt_f64_f32_e32 v[8:9], v8
	v_add_co_u32_e32 v16, vcc, s2, v0
	v_addc_co_u32_e32 v17, vcc, v14, v1, vcc
	v_lshlrev_b64 v[0:1], 3, v[12:13]
	v_mul_f64 v[12:13], v[6:7], s[0:1]
	v_mul_f64 v[14:15], v[8:9], s[0:1]
	ds_read2_b64 v[6:9], v117 offset0:156 offset1:234
	v_add_co_u32_e32 v0, vcc, v16, v0
	v_addc_co_u32_e32 v1, vcc, v17, v1, vcc
	global_store_dwordx2 v[0:1], v[10:11], off
	v_cvt_f32_f64_e32 v10, v[12:13]
	s_waitcnt lgkmcnt(0)
	v_mul_f32_e32 v12, v104, v7
	v_fmac_f32_e32 v12, v103, v6
	v_mul_f32_e32 v6, v104, v6
	v_fma_f32 v6, v103, v7, -v6
	v_cvt_f64_f32_e32 v[6:7], v6
	v_cvt_f64_f32_e32 v[12:13], v12
	v_cvt_f32_f64_e32 v11, v[14:15]
	s_mul_i32 s2, s9, 0x270
	v_mul_f64 v[6:7], v[6:7], s[0:1]
	v_mul_f64 v[12:13], v[12:13], s[0:1]
	s_mul_hi_u32 s3, s8, 0x270
	s_add_i32 s2, s3, s2
	s_mul_i32 s3, s8, 0x270
	v_mov_b32_e32 v14, s2
	v_add_co_u32_e32 v0, vcc, s3, v0
	v_addc_co_u32_e32 v1, vcc, v1, v14, vcc
	global_store_dwordx2 v[0:1], v[10:11], off
	v_cvt_f32_f64_e32 v11, v[6:7]
	v_mul_f32_e32 v6, v100, v9
	v_fmac_f32_e32 v6, v99, v8
	v_cvt_f32_f64_e32 v10, v[12:13]
	v_cvt_f64_f32_e32 v[12:13], v6
	v_mul_f32_e32 v6, v100, v8
	v_fma_f32 v6, v99, v9, -v6
	v_cvt_f64_f32_e32 v[14:15], v6
	ds_read2_b64 v[5:8], v5 offset0:56 offset1:134
	v_mov_b32_e32 v16, s2
	v_add_co_u32_e32 v0, vcc, s3, v0
	v_addc_co_u32_e32 v1, vcc, v1, v16, vcc
	global_store_dwordx2 v[0:1], v[10:11], off
	v_mul_f64 v[9:10], v[12:13], s[0:1]
	s_waitcnt lgkmcnt(0)
	v_mul_f32_e32 v13, v106, v6
	v_mul_f64 v[11:12], v[14:15], s[0:1]
	v_fmac_f32_e32 v13, v105, v5
	v_mul_f32_e32 v5, v106, v5
	v_fma_f32 v5, v105, v6, -v5
	v_cvt_f64_f32_e32 v[5:6], v5
	v_cvt_f64_f32_e32 v[13:14], v13
	v_cvt_f32_f64_e32 v9, v[9:10]
	v_add_co_u32_e32 v0, vcc, s3, v0
	v_mul_f64 v[5:6], v[5:6], s[0:1]
	v_cvt_f32_f64_e32 v10, v[11:12]
	v_mul_f64 v[11:12], v[13:14], s[0:1]
	v_mov_b32_e32 v13, s2
	v_addc_co_u32_e32 v1, vcc, v1, v13, vcc
	global_store_dwordx2 v[0:1], v[9:10], off
	v_mov_b32_e32 v15, s2
	v_cvt_f32_f64_e32 v10, v[5:6]
	v_mul_f32_e32 v5, v102, v8
	v_fmac_f32_e32 v5, v101, v7
	v_cvt_f32_f64_e32 v9, v[11:12]
	v_cvt_f64_f32_e32 v[11:12], v5
	v_mul_f32_e32 v5, v102, v7
	v_fma_f32 v5, v101, v8, -v5
	v_cvt_f64_f32_e32 v[13:14], v5
	ds_read2_b64 v[4:7], v4 offset0:84 offset1:162
	v_add_co_u32_e32 v0, vcc, s3, v0
	v_addc_co_u32_e32 v1, vcc, v1, v15, vcc
	global_store_dwordx2 v[0:1], v[9:10], off
	v_mul_f64 v[8:9], v[11:12], s[0:1]
	s_waitcnt lgkmcnt(0)
	v_mul_f32_e32 v12, v96, v5
	v_mul_f64 v[10:11], v[13:14], s[0:1]
	v_fmac_f32_e32 v12, v95, v4
	v_mul_f32_e32 v4, v96, v4
	v_fma_f32 v4, v95, v5, -v4
	v_cvt_f64_f32_e32 v[4:5], v4
	v_cvt_f64_f32_e32 v[12:13], v12
	v_cvt_f32_f64_e32 v8, v[8:9]
	v_add_co_u32_e32 v0, vcc, s3, v0
	v_mul_f64 v[4:5], v[4:5], s[0:1]
	v_cvt_f32_f64_e32 v9, v[10:11]
	v_mul_f64 v[10:11], v[12:13], s[0:1]
	v_mov_b32_e32 v12, s2
	v_addc_co_u32_e32 v1, vcc, v1, v12, vcc
	global_store_dwordx2 v[0:1], v[8:9], off
	v_mov_b32_e32 v14, s2
	v_cvt_f32_f64_e32 v9, v[4:5]
	v_mul_f32_e32 v4, v98, v7
	v_fmac_f32_e32 v4, v97, v6
	v_cvt_f32_f64_e32 v8, v[10:11]
	v_cvt_f64_f32_e32 v[10:11], v4
	v_mul_f32_e32 v4, v98, v6
	v_fma_f32 v4, v97, v7, -v4
	v_cvt_f64_f32_e32 v[12:13], v4
	ds_read2_b64 v[3:6], v3 offset0:112 offset1:190
	v_add_co_u32_e32 v0, vcc, s3, v0
	v_addc_co_u32_e32 v1, vcc, v1, v14, vcc
	global_store_dwordx2 v[0:1], v[8:9], off
	v_mul_f64 v[7:8], v[10:11], s[0:1]
	v_mul_f64 v[9:10], v[12:13], s[0:1]
	s_waitcnt lgkmcnt(0)
	v_mul_f32_e32 v11, v91, v4
	v_fmac_f32_e32 v11, v90, v3
	v_cvt_f64_f32_e32 v[11:12], v11
	v_mul_f32_e32 v3, v91, v3
	v_fma_f32 v3, v90, v4, -v3
	v_cvt_f64_f32_e32 v[3:4], v3
	v_cvt_f32_f64_e32 v7, v[7:8]
	v_cvt_f32_f64_e32 v8, v[9:10]
	v_mul_f64 v[9:10], v[11:12], s[0:1]
	v_mul_f64 v[3:4], v[3:4], s[0:1]
	v_mov_b32_e32 v12, s2
	v_add_co_u32_e32 v11, vcc, s3, v0
	v_mul_f32_e32 v0, v93, v6
	v_addc_co_u32_e32 v12, vcc, v1, v12, vcc
	v_fmac_f32_e32 v0, v92, v5
	global_store_dwordx2 v[11:12], v[7:8], off
	v_cvt_f32_f64_e32 v7, v[9:10]
	v_cvt_f64_f32_e32 v[9:10], v0
	v_mul_f32_e32 v0, v93, v5
	v_fma_f32 v0, v92, v6, -v0
	v_cvt_f32_f64_e32 v8, v[3:4]
	v_cvt_f64_f32_e32 v[4:5], v0
	ds_read2_b64 v[0:3], v2 offset0:12 offset1:90
	v_mov_b32_e32 v13, s2
	v_add_co_u32_e32 v11, vcc, s3, v11
	v_addc_co_u32_e32 v12, vcc, v12, v13, vcc
	global_store_dwordx2 v[11:12], v[7:8], off
	v_mul_f64 v[6:7], v[9:10], s[0:1]
	v_mul_f64 v[4:5], v[4:5], s[0:1]
	s_waitcnt lgkmcnt(0)
	v_mul_f32_e32 v8, v89, v1
	v_fmac_f32_e32 v8, v88, v0
	v_mul_f32_e32 v0, v89, v0
	v_fma_f32 v0, v88, v1, -v0
	v_cvt_f64_f32_e32 v[8:9], v8
	v_cvt_f64_f32_e32 v[0:1], v0
	v_cvt_f32_f64_e32 v6, v[6:7]
	v_cvt_f32_f64_e32 v7, v[4:5]
	v_mul_f64 v[4:5], v[8:9], s[0:1]
	v_mul_f64 v[0:1], v[0:1], s[0:1]
	v_mov_b32_e32 v9, s2
	v_add_co_u32_e32 v8, vcc, s3, v11
	v_addc_co_u32_e32 v9, vcc, v12, v9, vcc
	global_store_dwordx2 v[8:9], v[6:7], off
	v_cvt_f32_f64_e32 v4, v[4:5]
	v_cvt_f32_f64_e32 v5, v[0:1]
	v_mul_f32_e32 v0, v87, v3
	v_fmac_f32_e32 v0, v86, v2
	v_mul_f32_e32 v2, v87, v2
	v_fma_f32 v2, v86, v3, -v2
	v_cvt_f64_f32_e32 v[0:1], v0
	v_cvt_f64_f32_e32 v[2:3], v2
	ds_read_b64 v[6:7], v117 offset:7488
	v_mov_b32_e32 v10, s2
	v_add_co_u32_e32 v8, vcc, s3, v8
	v_addc_co_u32_e32 v9, vcc, v9, v10, vcc
	v_mul_f64 v[0:1], v[0:1], s[0:1]
	v_mul_f64 v[2:3], v[2:3], s[0:1]
	global_store_dwordx2 v[8:9], v[4:5], off
	s_waitcnt lgkmcnt(0)
	v_mul_f32_e32 v4, v85, v7
	v_fmac_f32_e32 v4, v84, v6
	v_mul_f32_e32 v6, v85, v6
	v_fma_f32 v6, v84, v7, -v6
	v_cvt_f64_f32_e32 v[4:5], v4
	v_cvt_f64_f32_e32 v[6:7], v6
	v_cvt_f32_f64_e32 v0, v[0:1]
	v_cvt_f32_f64_e32 v1, v[2:3]
	v_mul_f64 v[2:3], v[4:5], s[0:1]
	v_mul_f64 v[4:5], v[6:7], s[0:1]
	v_mov_b32_e32 v7, s2
	v_add_co_u32_e32 v6, vcc, s3, v8
	v_addc_co_u32_e32 v7, vcc, v9, v7, vcc
	global_store_dwordx2 v[6:7], v[0:1], off
	v_cvt_f32_f64_e32 v0, v[2:3]
	v_cvt_f32_f64_e32 v1, v[4:5]
	v_mov_b32_e32 v3, s2
	v_add_co_u32_e32 v2, vcc, s3, v6
	v_addc_co_u32_e32 v3, vcc, v7, v3, vcc
	global_store_dwordx2 v[2:3], v[0:1], off
.LBB0_10:
	s_endpgm
	.section	.rodata,"a",@progbits
	.p2align	6, 0x0
	.amdhsa_kernel bluestein_single_back_len1014_dim1_sp_op_CI_CI
		.amdhsa_group_segment_fixed_size 16224
		.amdhsa_private_segment_fixed_size 0
		.amdhsa_kernarg_size 104
		.amdhsa_user_sgpr_count 6
		.amdhsa_user_sgpr_private_segment_buffer 1
		.amdhsa_user_sgpr_dispatch_ptr 0
		.amdhsa_user_sgpr_queue_ptr 0
		.amdhsa_user_sgpr_kernarg_segment_ptr 1
		.amdhsa_user_sgpr_dispatch_id 0
		.amdhsa_user_sgpr_flat_scratch_init 0
		.amdhsa_user_sgpr_private_segment_size 0
		.amdhsa_uses_dynamic_stack 0
		.amdhsa_system_sgpr_private_segment_wavefront_offset 0
		.amdhsa_system_sgpr_workgroup_id_x 1
		.amdhsa_system_sgpr_workgroup_id_y 0
		.amdhsa_system_sgpr_workgroup_id_z 0
		.amdhsa_system_sgpr_workgroup_info 0
		.amdhsa_system_vgpr_workitem_id 0
		.amdhsa_next_free_vgpr 154
		.amdhsa_next_free_sgpr 20
		.amdhsa_reserve_vcc 1
		.amdhsa_reserve_flat_scratch 0
		.amdhsa_float_round_mode_32 0
		.amdhsa_float_round_mode_16_64 0
		.amdhsa_float_denorm_mode_32 3
		.amdhsa_float_denorm_mode_16_64 3
		.amdhsa_dx10_clamp 1
		.amdhsa_ieee_mode 1
		.amdhsa_fp16_overflow 0
		.amdhsa_exception_fp_ieee_invalid_op 0
		.amdhsa_exception_fp_denorm_src 0
		.amdhsa_exception_fp_ieee_div_zero 0
		.amdhsa_exception_fp_ieee_overflow 0
		.amdhsa_exception_fp_ieee_underflow 0
		.amdhsa_exception_fp_ieee_inexact 0
		.amdhsa_exception_int_div_zero 0
	.end_amdhsa_kernel
	.text
.Lfunc_end0:
	.size	bluestein_single_back_len1014_dim1_sp_op_CI_CI, .Lfunc_end0-bluestein_single_back_len1014_dim1_sp_op_CI_CI
                                        ; -- End function
	.section	.AMDGPU.csdata,"",@progbits
; Kernel info:
; codeLenInByte = 17764
; NumSgprs: 24
; NumVgprs: 154
; ScratchSize: 0
; MemoryBound: 0
; FloatMode: 240
; IeeeMode: 1
; LDSByteSize: 16224 bytes/workgroup (compile time only)
; SGPRBlocks: 2
; VGPRBlocks: 38
; NumSGPRsForWavesPerEU: 24
; NumVGPRsForWavesPerEU: 154
; Occupancy: 1
; WaveLimiterHint : 1
; COMPUTE_PGM_RSRC2:SCRATCH_EN: 0
; COMPUTE_PGM_RSRC2:USER_SGPR: 6
; COMPUTE_PGM_RSRC2:TRAP_HANDLER: 0
; COMPUTE_PGM_RSRC2:TGID_X_EN: 1
; COMPUTE_PGM_RSRC2:TGID_Y_EN: 0
; COMPUTE_PGM_RSRC2:TGID_Z_EN: 0
; COMPUTE_PGM_RSRC2:TIDIG_COMP_CNT: 0
	.type	__hip_cuid_290f6de33c5cef40,@object ; @__hip_cuid_290f6de33c5cef40
	.section	.bss,"aw",@nobits
	.globl	__hip_cuid_290f6de33c5cef40
__hip_cuid_290f6de33c5cef40:
	.byte	0                               ; 0x0
	.size	__hip_cuid_290f6de33c5cef40, 1

	.ident	"AMD clang version 19.0.0git (https://github.com/RadeonOpenCompute/llvm-project roc-6.4.0 25133 c7fe45cf4b819c5991fe208aaa96edf142730f1d)"
	.section	".note.GNU-stack","",@progbits
	.addrsig
	.addrsig_sym __hip_cuid_290f6de33c5cef40
	.amdgpu_metadata
---
amdhsa.kernels:
  - .args:
      - .actual_access:  read_only
        .address_space:  global
        .offset:         0
        .size:           8
        .value_kind:     global_buffer
      - .actual_access:  read_only
        .address_space:  global
        .offset:         8
        .size:           8
        .value_kind:     global_buffer
      - .actual_access:  read_only
        .address_space:  global
        .offset:         16
        .size:           8
        .value_kind:     global_buffer
      - .actual_access:  read_only
        .address_space:  global
        .offset:         24
        .size:           8
        .value_kind:     global_buffer
      - .actual_access:  read_only
        .address_space:  global
        .offset:         32
        .size:           8
        .value_kind:     global_buffer
      - .offset:         40
        .size:           8
        .value_kind:     by_value
      - .address_space:  global
        .offset:         48
        .size:           8
        .value_kind:     global_buffer
      - .address_space:  global
        .offset:         56
        .size:           8
        .value_kind:     global_buffer
      - .address_space:  global
        .offset:         64
        .size:           8
        .value_kind:     global_buffer
      - .address_space:  global
        .offset:         72
        .size:           8
        .value_kind:     global_buffer
      - .offset:         80
        .size:           4
        .value_kind:     by_value
      - .address_space:  global
        .offset:         88
        .size:           8
        .value_kind:     global_buffer
      - .address_space:  global
        .offset:         96
        .size:           8
        .value_kind:     global_buffer
    .group_segment_fixed_size: 16224
    .kernarg_segment_align: 8
    .kernarg_segment_size: 104
    .language:       OpenCL C
    .language_version:
      - 2
      - 0
    .max_flat_workgroup_size: 156
    .name:           bluestein_single_back_len1014_dim1_sp_op_CI_CI
    .private_segment_fixed_size: 0
    .sgpr_count:     24
    .sgpr_spill_count: 0
    .symbol:         bluestein_single_back_len1014_dim1_sp_op_CI_CI.kd
    .uniform_work_group_size: 1
    .uses_dynamic_stack: false
    .vgpr_count:     154
    .vgpr_spill_count: 0
    .wavefront_size: 64
amdhsa.target:   amdgcn-amd-amdhsa--gfx906
amdhsa.version:
  - 1
  - 2
...

	.end_amdgpu_metadata
